;; amdgpu-corpus repo=vllm-project/vllm kind=compiled arch=gfx1100 opt=O3
	.text
	.amdgcn_target "amdgcn-amd-amdhsa--gfx1100"
	.amdhsa_code_object_version 6
	.section	.text._ZN4vllm15rms_norm_kernelIfLi16ELi2EEEvPT_PKS1_lllllS4_fii,"axG",@progbits,_ZN4vllm15rms_norm_kernelIfLi16ELi2EEEvPT_PKS1_lllllS4_fii,comdat
	.protected	_ZN4vllm15rms_norm_kernelIfLi16ELi2EEEvPT_PKS1_lllllS4_fii ; -- Begin function _ZN4vllm15rms_norm_kernelIfLi16ELi2EEEvPT_PKS1_lllllS4_fii
	.globl	_ZN4vllm15rms_norm_kernelIfLi16ELi2EEEvPT_PKS1_lllllS4_fii
	.p2align	8
	.type	_ZN4vllm15rms_norm_kernelIfLi16ELi2EEEvPT_PKS1_lllllS4_fii,@function
_ZN4vllm15rms_norm_kernelIfLi16ELi2EEEvPT_PKS1_lllllS4_fii: ; @_ZN4vllm15rms_norm_kernelIfLi16ELi2EEEvPT_PKS1_lllllS4_fii
; %bb.0:
	s_clause 0x2
	s_load_b128 s[4:7], s[0:1], 0x8
	s_load_b32 s2, s[0:1], 0x5c
	s_load_b32 s3, s[0:1], 0x48
	s_mov_b32 s9, 0
	s_waitcnt lgkmcnt(0)
	s_mul_i32 s7, s15, s7
	s_mul_hi_u32 s8, s15, s6
	s_mul_i32 s6, s15, s6
	s_add_i32 s7, s8, s7
	s_delay_alu instid0(SALU_CYCLE_1) | instskip(NEXT) | instid1(SALU_CYCLE_1)
	s_lshl_b64 s[6:7], s[6:7], 2
	s_add_u32 s10, s4, s6
	s_addc_u32 s11, s5, s7
	s_and_b32 s8, s10, 63
	s_and_b32 s12, s2, 0xffff
	s_cmp_lg_u64 s[8:9], 0
	s_cselect_b32 s2, -1, 0
	s_and_b32 s8, s3, 15
	s_delay_alu instid0(SALU_CYCLE_1) | instskip(SKIP_1) | instid1(SALU_CYCLE_1)
	s_cmp_lg_u32 s8, 0
	s_cselect_b32 s8, -1, 0
	s_or_b32 s2, s2, s8
	s_delay_alu instid0(SALU_CYCLE_1)
	s_and_b32 vcc_lo, exec_lo, s2
	s_cbranch_vccz .LBB0_14
; %bb.1:
	s_sub_i32 s2, 0, s10
	v_mov_b32_e32 v4, 0
	s_bfe_u32 s2, s2, 0x40002
	s_mov_b32 s9, exec_lo
	s_min_i32 s8, s2, s3
	s_delay_alu instid0(SALU_CYCLE_1)
	v_cmpx_gt_i32_e64 s8, v0
	s_cbranch_execz .LBB0_5
; %bb.2:
	v_dual_mov_b32 v4, 0 :: v_dual_lshlrev_b32 v1, 2, v0
	s_add_u32 s2, s4, s6
	s_addc_u32 s13, s5, s7
	v_mov_b32_e32 v3, v0
	s_delay_alu instid0(VALU_DEP_2) | instskip(NEXT) | instid1(VALU_DEP_1)
	v_add_co_u32 v1, s2, s2, v1
	v_add_co_ci_u32_e64 v2, null, s13, 0, s2
	s_mov_b32 s13, 0
	s_lshl_b32 s14, s12, 2
.LBB0_3:                                ; =>This Inner Loop Header: Depth=1
	global_load_b32 v5, v[1:2], off
	v_add_nc_u32_e32 v3, s12, v3
	v_add_co_u32 v1, vcc_lo, v1, s14
	v_add_co_ci_u32_e32 v2, vcc_lo, 0, v2, vcc_lo
	s_waitcnt vmcnt(0)
	v_fmac_f32_e32 v4, v5, v5
	v_cmp_le_i32_e64 s2, s8, v3
	s_delay_alu instid0(VALU_DEP_1) | instskip(NEXT) | instid1(SALU_CYCLE_1)
	s_or_b32 s13, s2, s13
	s_and_not1_b32 exec_lo, exec_lo, s13
	s_cbranch_execnz .LBB0_3
; %bb.4:
	s_or_b32 exec_lo, exec_lo, s13
.LBB0_5:
	s_delay_alu instid0(SALU_CYCLE_1)
	s_or_b32 exec_lo, exec_lo, s9
	s_sub_i32 s13, s3, s8
	s_ashr_i32 s9, s8, 31
	s_ashr_i32 s2, s13, 31
	s_mov_b32 s16, exec_lo
	s_lshr_b32 s2, s2, 28
	s_delay_alu instid0(SALU_CYCLE_1) | instskip(NEXT) | instid1(SALU_CYCLE_1)
	s_add_i32 s2, s13, s2
	s_ashr_i32 s14, s2, 4
	s_delay_alu instid0(SALU_CYCLE_1)
	v_cmpx_gt_i32_e64 s14, v0
	s_cbranch_execz .LBB0_9
; %bb.6:
	s_lshl_b64 s[18:19], s[8:9], 2
	v_lshlrev_b32_e32 v1, 6, v0
	s_add_u32 s2, s4, s18
	s_addc_u32 s17, s5, s19
	s_add_u32 s2, s2, s6
	s_addc_u32 s17, s17, s7
	v_add_co_u32 v1, s2, s2, v1
	s_delay_alu instid0(VALU_DEP_1)
	v_add_co_ci_u32_e64 v2, null, s17, 0, s2
	v_mov_b32_e32 v3, v0
	s_mov_b32 s17, 0
	s_lshl_b32 s18, s12, 6
	s_set_inst_prefetch_distance 0x1
	.p2align	6
.LBB0_7:                                ; =>This Inner Loop Header: Depth=1
	s_clause 0x3
	global_load_b128 v[5:8], v[1:2], off
	global_load_b128 v[9:12], v[1:2], off offset:16
	global_load_b128 v[13:16], v[1:2], off offset:32
	;; [unrolled: 1-line block ×3, first 2 shown]
	v_add_co_u32 v1, vcc_lo, v1, s18
	v_add_co_ci_u32_e32 v2, vcc_lo, 0, v2, vcc_lo
	v_add_nc_u32_e32 v3, s12, v3
	s_delay_alu instid0(VALU_DEP_1) | instskip(NEXT) | instid1(VALU_DEP_1)
	v_cmp_le_i32_e64 s2, s14, v3
	s_or_b32 s17, s2, s17
	s_waitcnt vmcnt(3)
	v_fmac_f32_e32 v4, v5, v5
	s_delay_alu instid0(VALU_DEP_1) | instskip(NEXT) | instid1(VALU_DEP_1)
	v_fmac_f32_e32 v4, v6, v6
	v_fmac_f32_e32 v4, v7, v7
	s_delay_alu instid0(VALU_DEP_1) | instskip(SKIP_1) | instid1(VALU_DEP_1)
	v_fmac_f32_e32 v4, v8, v8
	s_waitcnt vmcnt(2)
	v_fmac_f32_e32 v4, v9, v9
	s_delay_alu instid0(VALU_DEP_1) | instskip(NEXT) | instid1(VALU_DEP_1)
	v_fmac_f32_e32 v4, v10, v10
	v_fmac_f32_e32 v4, v11, v11
	s_delay_alu instid0(VALU_DEP_1) | instskip(SKIP_1) | instid1(VALU_DEP_1)
	v_fmac_f32_e32 v4, v12, v12
	;; [unrolled: 7-line block ×3, first 2 shown]
	s_waitcnt vmcnt(0)
	v_fmac_f32_e32 v4, v17, v17
	s_delay_alu instid0(VALU_DEP_1) | instskip(NEXT) | instid1(VALU_DEP_1)
	v_fmac_f32_e32 v4, v18, v18
	v_fmac_f32_e32 v4, v19, v19
	s_delay_alu instid0(VALU_DEP_1)
	v_fmac_f32_e32 v4, v20, v20
	s_and_not1_b32 exec_lo, exec_lo, s17
	s_cbranch_execnz .LBB0_7
; %bb.8:
	s_set_inst_prefetch_distance 0x2
	s_or_b32 exec_lo, exec_lo, s17
.LBB0_9:
	s_delay_alu instid0(SALU_CYCLE_1) | instskip(SKIP_2) | instid1(VALU_DEP_1)
	s_or_b32 exec_lo, exec_lo, s16
	v_lshl_add_u32 v1, s14, 4, v0
	s_mov_b32 s14, exec_lo
	v_cmpx_gt_i32_e64 s13, v1
	s_cbranch_execz .LBB0_13
; %bb.10:
	v_ashrrev_i32_e32 v2, 31, v1
	s_lshl_b64 s[8:9], s[8:9], 2
	s_delay_alu instid0(SALU_CYCLE_1) | instskip(SKIP_1) | instid1(VALU_DEP_1)
	s_add_u32 s2, s6, s8
	s_addc_u32 s8, s7, s9
	v_lshlrev_b64 v[2:3], 2, v[1:2]
	s_add_u32 s2, s4, s2
	s_addc_u32 s8, s5, s8
	s_lshl_b32 s9, s12, 2
	s_delay_alu instid0(VALU_DEP_1) | instskip(NEXT) | instid1(VALU_DEP_2)
	v_add_co_u32 v2, vcc_lo, s2, v2
	v_add_co_ci_u32_e32 v3, vcc_lo, s8, v3, vcc_lo
	s_mov_b32 s8, 0
.LBB0_11:                               ; =>This Inner Loop Header: Depth=1
	global_load_b32 v5, v[2:3], off
	v_add_nc_u32_e32 v1, s12, v1
	v_add_co_u32 v2, vcc_lo, v2, s9
	v_add_co_ci_u32_e32 v3, vcc_lo, 0, v3, vcc_lo
	s_delay_alu instid0(VALU_DEP_3) | instskip(NEXT) | instid1(VALU_DEP_1)
	v_cmp_le_i32_e64 s2, s13, v1
	s_or_b32 s8, s2, s8
	s_waitcnt vmcnt(0)
	v_fmac_f32_e32 v4, v5, v5
	s_and_not1_b32 exec_lo, exec_lo, s8
	s_cbranch_execnz .LBB0_11
; %bb.12:
	s_or_b32 exec_lo, exec_lo, s8
.LBB0_13:
	s_delay_alu instid0(SALU_CYCLE_1)
	s_or_b32 exec_lo, exec_lo, s14
	s_branch .LBB0_20
.LBB0_14:
                                        ; implicit-def: $vgpr4
	s_cbranch_execz .LBB0_20
; %bb.15:
	v_mov_b32_e32 v4, 0
	s_ashr_i32 s9, s3, 4
	s_mov_b32 s8, exec_lo
	v_cmpx_gt_i32_e64 s9, v0
	s_cbranch_execz .LBB0_19
; %bb.16:
	v_dual_mov_b32 v4, 0 :: v_dual_lshlrev_b32 v1, 6, v0
	s_add_u32 s2, s4, s6
	s_addc_u32 s4, s5, s7
	v_mov_b32_e32 v3, v0
	s_delay_alu instid0(VALU_DEP_2) | instskip(NEXT) | instid1(VALU_DEP_1)
	v_add_co_u32 v1, s2, s2, v1
	v_add_co_ci_u32_e64 v2, null, s4, 0, s2
	s_mov_b32 s4, 0
	s_lshl_b32 s5, s12, 6
	s_set_inst_prefetch_distance 0x1
	.p2align	6
.LBB0_17:                               ; =>This Inner Loop Header: Depth=1
	s_clause 0x3
	global_load_b128 v[5:8], v[1:2], off
	global_load_b128 v[9:12], v[1:2], off offset:16
	global_load_b128 v[13:16], v[1:2], off offset:32
	;; [unrolled: 1-line block ×3, first 2 shown]
	v_add_co_u32 v1, vcc_lo, v1, s5
	v_add_co_ci_u32_e32 v2, vcc_lo, 0, v2, vcc_lo
	v_add_nc_u32_e32 v3, s12, v3
	s_delay_alu instid0(VALU_DEP_1) | instskip(NEXT) | instid1(VALU_DEP_1)
	v_cmp_le_i32_e64 s2, s9, v3
	s_or_b32 s4, s2, s4
	s_waitcnt vmcnt(3)
	v_fmac_f32_e32 v4, v5, v5
	s_delay_alu instid0(VALU_DEP_1) | instskip(NEXT) | instid1(VALU_DEP_1)
	v_fmac_f32_e32 v4, v6, v6
	v_fmac_f32_e32 v4, v7, v7
	s_delay_alu instid0(VALU_DEP_1) | instskip(SKIP_1) | instid1(VALU_DEP_1)
	v_fmac_f32_e32 v4, v8, v8
	s_waitcnt vmcnt(2)
	v_fmac_f32_e32 v4, v9, v9
	s_delay_alu instid0(VALU_DEP_1) | instskip(NEXT) | instid1(VALU_DEP_1)
	v_fmac_f32_e32 v4, v10, v10
	v_fmac_f32_e32 v4, v11, v11
	s_delay_alu instid0(VALU_DEP_1) | instskip(SKIP_1) | instid1(VALU_DEP_1)
	v_fmac_f32_e32 v4, v12, v12
	;; [unrolled: 7-line block ×3, first 2 shown]
	s_waitcnt vmcnt(0)
	v_fmac_f32_e32 v4, v17, v17
	s_delay_alu instid0(VALU_DEP_1) | instskip(NEXT) | instid1(VALU_DEP_1)
	v_fmac_f32_e32 v4, v18, v18
	v_fmac_f32_e32 v4, v19, v19
	s_delay_alu instid0(VALU_DEP_1)
	v_fmac_f32_e32 v4, v20, v20
	s_and_not1_b32 exec_lo, exec_lo, s4
	s_cbranch_execnz .LBB0_17
; %bb.18:
	s_set_inst_prefetch_distance 0x2
	s_or_b32 exec_lo, exec_lo, s4
.LBB0_19:
	s_delay_alu instid0(SALU_CYCLE_1)
	s_or_b32 exec_lo, exec_lo, s8
.LBB0_20:
	v_mbcnt_lo_u32_b32 v1, -1, 0
	v_and_b32_e32 v3, 0x3e0, v0
	s_mov_b32 s2, exec_lo
	s_delay_alu instid0(VALU_DEP_2) | instskip(NEXT) | instid1(VALU_DEP_2)
	v_cmp_ne_u32_e32 vcc_lo, 31, v1
	v_sub_nc_u32_e64 v12, s12, v3 clamp
	v_add_nc_u32_e32 v3, 1, v1
	v_add_co_ci_u32_e32 v2, vcc_lo, 0, v1, vcc_lo
	v_cmp_gt_u32_e32 vcc_lo, 30, v1
	s_delay_alu instid0(VALU_DEP_2)
	v_lshlrev_b32_e32 v2, 2, v2
	v_cndmask_b32_e64 v6, 0, 1, vcc_lo
	v_cmp_lt_u32_e32 vcc_lo, v3, v12
	ds_bpermute_b32 v5, v2, v4
	s_waitcnt lgkmcnt(0)
	v_dual_add_f32 v7, v4, v5 :: v_dual_lshlrev_b32 v6, 1, v6
	s_delay_alu instid0(VALU_DEP_1) | instskip(NEXT) | instid1(VALU_DEP_2)
	v_cndmask_b32_e32 v7, v4, v7, vcc_lo
	v_add_lshl_u32 v5, v6, v1, 2
	v_cmp_gt_u32_e32 vcc_lo, 28, v1
	ds_bpermute_b32 v6, v5, v7
	v_cndmask_b32_e64 v4, 0, 1, vcc_lo
	s_delay_alu instid0(VALU_DEP_1) | instskip(SKIP_1) | instid1(VALU_DEP_1)
	v_lshlrev_b32_e32 v8, 2, v4
	v_add_nc_u32_e32 v4, 2, v1
	v_cmp_lt_u32_e32 vcc_lo, v4, v12
	s_waitcnt lgkmcnt(0)
	v_add_f32_e32 v9, v7, v6
	v_add_lshl_u32 v6, v8, v1, 2
	s_delay_alu instid0(VALU_DEP_2) | instskip(SKIP_2) | instid1(VALU_DEP_1)
	v_cndmask_b32_e32 v9, v7, v9, vcc_lo
	v_cmp_gt_u32_e32 vcc_lo, 24, v1
	v_cndmask_b32_e64 v7, 0, 1, vcc_lo
	v_lshlrev_b32_e32 v10, 3, v7
	ds_bpermute_b32 v8, v6, v9
	v_add_nc_u32_e32 v7, 4, v1
	s_delay_alu instid0(VALU_DEP_1) | instskip(SKIP_3) | instid1(VALU_DEP_2)
	v_cmp_lt_u32_e32 vcc_lo, v7, v12
	s_waitcnt lgkmcnt(0)
	v_add_f32_e32 v11, v9, v8
	v_add_lshl_u32 v8, v10, v1, 2
	v_cndmask_b32_e32 v11, v9, v11, vcc_lo
	v_cmp_gt_u32_e32 vcc_lo, 16, v1
	ds_bpermute_b32 v10, v8, v11
	v_cndmask_b32_e64 v9, 0, 1, vcc_lo
	s_delay_alu instid0(VALU_DEP_1) | instskip(SKIP_1) | instid1(VALU_DEP_1)
	v_lshlrev_b32_e32 v13, 4, v9
	v_add_nc_u32_e32 v9, 8, v1
	v_cmp_lt_u32_e32 vcc_lo, v9, v12
	s_waitcnt lgkmcnt(0)
	v_add_f32_e32 v14, v11, v10
	v_add_lshl_u32 v10, v13, v1, 2
	s_delay_alu instid0(VALU_DEP_2)
	v_cndmask_b32_e32 v13, v11, v14, vcc_lo
	v_add_nc_u32_e32 v11, 16, v1
	ds_bpermute_b32 v14, v10, v13
	v_cmp_lt_u32_e32 vcc_lo, v11, v12
	s_waitcnt lgkmcnt(0)
	v_add_f32_e32 v14, v13, v14
	s_delay_alu instid0(VALU_DEP_1)
	v_cndmask_b32_e32 v12, v13, v14, vcc_lo
	v_cmpx_eq_u32_e32 0, v1
	s_cbranch_execz .LBB0_22
; %bb.21:
	v_lshrrev_b32_e32 v13, 3, v0
	s_delay_alu instid0(VALU_DEP_1)
	v_and_b32_e32 v13, 0x7c, v13
	ds_store_b32 v13, v12
.LBB0_22:
	s_or_b32 exec_lo, exec_lo, s2
	s_delay_alu instid0(SALU_CYCLE_1)
	s_mov_b32 s2, exec_lo
	s_waitcnt lgkmcnt(0)
	s_barrier
	buffer_gl0_inv
	v_cmpx_gt_u32_e32 32, v0
	s_cbranch_execz .LBB0_24
; %bb.23:
	v_lshlrev_b32_e32 v1, 2, v1
	s_add_i32 s4, s12, 31
	s_delay_alu instid0(SALU_CYCLE_1) | instskip(NEXT) | instid1(SALU_CYCLE_1)
	s_lshr_b32 s4, s4, 5
	v_cmp_gt_u32_e32 vcc_lo, s4, v3
	ds_load_b32 v1, v1
	s_waitcnt lgkmcnt(0)
	ds_bpermute_b32 v2, v2, v1
	s_waitcnt lgkmcnt(0)
	v_add_f32_e32 v2, v1, v2
	s_delay_alu instid0(VALU_DEP_1) | instskip(SKIP_4) | instid1(VALU_DEP_1)
	v_cndmask_b32_e32 v1, v1, v2, vcc_lo
	v_cmp_gt_u32_e32 vcc_lo, s4, v4
	ds_bpermute_b32 v2, v5, v1
	s_waitcnt lgkmcnt(0)
	v_add_f32_e32 v2, v1, v2
	v_cndmask_b32_e32 v1, v1, v2, vcc_lo
	v_cmp_gt_u32_e32 vcc_lo, s4, v7
	ds_bpermute_b32 v2, v6, v1
	s_waitcnt lgkmcnt(0)
	v_add_f32_e32 v2, v1, v2
	s_delay_alu instid0(VALU_DEP_1) | instskip(SKIP_4) | instid1(VALU_DEP_1)
	v_cndmask_b32_e32 v1, v1, v2, vcc_lo
	v_cmp_gt_u32_e32 vcc_lo, s4, v9
	ds_bpermute_b32 v2, v8, v1
	s_waitcnt lgkmcnt(0)
	v_add_f32_e32 v2, v1, v2
	v_cndmask_b32_e32 v1, v1, v2, vcc_lo
	v_cmp_gt_u32_e32 vcc_lo, s4, v11
	ds_bpermute_b32 v2, v10, v1
	s_waitcnt lgkmcnt(0)
	v_add_f32_e32 v2, v1, v2
	s_delay_alu instid0(VALU_DEP_1)
	v_cndmask_b32_e32 v12, v1, v2, vcc_lo
.LBB0_24:
	s_or_b32 exec_lo, exec_lo, s2
	s_delay_alu instid0(SALU_CYCLE_1)
	s_mov_b32 s2, exec_lo
	v_cmpx_eq_u32_e32 0, v0
	s_cbranch_execz .LBB0_26
; %bb.25:
	v_cvt_f32_i32_e32 v1, s3
	s_load_b32 s4, s[0:1], 0x40
	s_delay_alu instid0(VALU_DEP_1) | instskip(SKIP_1) | instid1(VALU_DEP_2)
	v_div_scale_f32 v2, null, v1, v1, v12
	v_div_scale_f32 v5, vcc_lo, v12, v1, v12
	v_rcp_f32_e32 v3, v2
	s_waitcnt_depctr 0xfff
	v_fma_f32 v4, -v2, v3, 1.0
	s_delay_alu instid0(VALU_DEP_1) | instskip(NEXT) | instid1(VALU_DEP_1)
	v_fmac_f32_e32 v3, v4, v3
	v_mul_f32_e32 v4, v5, v3
	s_delay_alu instid0(VALU_DEP_1) | instskip(NEXT) | instid1(VALU_DEP_1)
	v_fma_f32 v6, -v2, v4, v5
	v_fmac_f32_e32 v4, v6, v3
	s_delay_alu instid0(VALU_DEP_1) | instskip(NEXT) | instid1(VALU_DEP_1)
	v_fma_f32 v2, -v2, v4, v5
	v_div_fmas_f32 v2, v2, v3, v4
	s_delay_alu instid0(VALU_DEP_1) | instskip(SKIP_1) | instid1(VALU_DEP_1)
	v_div_fixup_f32 v1, v2, v1, v12
	s_waitcnt lgkmcnt(0)
	v_add_f32_e32 v1, s4, v1
	s_delay_alu instid0(VALU_DEP_1) | instskip(SKIP_1) | instid1(VALU_DEP_2)
	v_mul_f32_e32 v2, 0x4b800000, v1
	v_cmp_gt_f32_e32 vcc_lo, 0x800000, v1
	v_cndmask_b32_e32 v1, v1, v2, vcc_lo
	s_delay_alu instid0(VALU_DEP_1) | instskip(SKIP_2) | instid1(VALU_DEP_1)
	v_rsq_f32_e32 v1, v1
	s_waitcnt_depctr 0xfff
	v_mul_f32_e32 v2, 0x45800000, v1
	v_dual_cndmask_b32 v1, v1, v2 :: v_dual_mov_b32 v2, 0
	ds_store_b32 v2, v1 offset:128
.LBB0_26:
	s_or_b32 exec_lo, exec_lo, s2
	s_ashr_i32 s2, s3, 31
	s_waitcnt lgkmcnt(0)
	s_lshr_b32 s2, s2, 28
	s_barrier
	s_add_i32 s2, s3, s2
	buffer_gl0_inv
	s_ashr_i32 s4, s2, 4
	s_mov_b32 s2, exec_lo
	v_cmpx_gt_i32_e64 s4, v0
	s_cbranch_execz .LBB0_29
; %bb.27:
	v_dual_mov_b32 v1, 0 :: v_dual_lshlrev_b32 v2, 6, v0
	s_clause 0x1
	s_load_b64 s[6:7], s[0:1], 0x0
	s_load_b64 s[0:1], s[0:1], 0x38
	s_mul_i32 s2, s15, s3
	s_mov_b32 s3, 0
	ds_load_b32 v1, v1 offset:128
	s_lshl_b64 s[8:9], s[2:3], 2
	s_waitcnt lgkmcnt(0)
	s_add_u32 s2, s6, s8
	s_addc_u32 s5, s7, s9
	s_lshl_b32 s6, s12, 6
.LBB0_28:                               ; =>This Inner Loop Header: Depth=1
	v_add_co_u32 v15, s7, s10, v2
	s_delay_alu instid0(VALU_DEP_1) | instskip(SKIP_1) | instid1(VALU_DEP_1)
	v_add_co_ci_u32_e64 v16, null, s11, 0, s7
	v_add_co_u32 v31, s7, s0, v2
	v_add_co_ci_u32_e64 v32, null, s1, 0, s7
	s_clause 0x3
	global_load_b128 v[3:6], v[15:16], off
	global_load_b128 v[7:10], v[15:16], off offset:16
	global_load_b128 v[11:14], v[15:16], off offset:32
	;; [unrolled: 1-line block ×3, first 2 shown]
	s_clause 0x3
	global_load_b128 v[19:22], v[31:32], off
	global_load_b128 v[23:26], v[31:32], off offset:16
	global_load_b128 v[27:30], v[31:32], off offset:32
	global_load_b128 v[31:34], v[31:32], off offset:48
	v_add_nc_u32_e32 v0, s12, v0
	v_add_co_u32 v35, s7, s2, v2
	s_add_u32 s2, s2, s6
	v_add_co_ci_u32_e64 v36, null, s5, 0, s7
	s_addc_u32 s5, s5, 0
	s_add_u32 s10, s10, s6
	s_addc_u32 s11, s11, 0
	s_add_u32 s0, s0, s6
	s_addc_u32 s1, s1, 0
	s_waitcnt vmcnt(7)
	v_mul_f32_e32 v3, v3, v1
	v_mul_f32_e32 v4, v4, v1
	s_waitcnt vmcnt(5)
	v_mul_f32_e32 v14, v14, v1
	s_waitcnt vmcnt(4)
	v_mul_f32_e32 v15, v15, v1
	v_mul_f32_e32 v7, v7, v1
	s_waitcnt vmcnt(3)
	v_dual_mul_f32 v6, v6, v1 :: v_dual_mul_f32 v3, v3, v19
	s_waitcnt vmcnt(1)
	v_mul_f32_e32 v14, v14, v30
	s_waitcnt vmcnt(0)
	v_dual_mul_f32 v10, v10, v1 :: v_dual_mul_f32 v15, v15, v31
	v_mul_f32_e32 v11, v11, v1
	v_dual_mul_f32 v5, v5, v1 :: v_dual_mul_f32 v4, v4, v20
	s_delay_alu instid0(VALU_DEP_3) | instskip(NEXT) | instid1(VALU_DEP_3)
	v_mul_f32_e32 v10, v10, v26
	v_dual_mul_f32 v8, v8, v1 :: v_dual_mul_f32 v11, v11, v27
	v_mul_f32_e32 v9, v9, v1
	v_mul_f32_e32 v12, v12, v1
	v_mul_f32_e32 v13, v13, v1
	v_cmp_le_i32_e32 vcc_lo, s4, v0
	v_mul_f32_e32 v16, v16, v1
	v_mul_f32_e32 v17, v17, v1
	;; [unrolled: 1-line block ×4, first 2 shown]
	v_dual_mul_f32 v7, v7, v23 :: v_dual_mul_f32 v6, v6, v22
	v_mul_f32_e32 v8, v8, v24
	s_delay_alu instid0(VALU_DEP_4)
	v_dual_mul_f32 v18, v18, v34 :: v_dual_mul_f32 v9, v9, v25
	v_dual_mul_f32 v12, v12, v28 :: v_dual_mul_f32 v13, v13, v29
	;; [unrolled: 1-line block ×3, first 2 shown]
	s_or_b32 s3, vcc_lo, s3
	s_clause 0x3
	global_store_b128 v[35:36], v[3:6], off
	global_store_b128 v[35:36], v[7:10], off offset:16
	global_store_b128 v[35:36], v[11:14], off offset:32
	;; [unrolled: 1-line block ×3, first 2 shown]
	s_and_not1_b32 exec_lo, exec_lo, s3
	s_cbranch_execnz .LBB0_28
.LBB0_29:
	s_nop 0
	s_sendmsg sendmsg(MSG_DEALLOC_VGPRS)
	s_endpgm
	.section	.rodata,"a",@progbits
	.p2align	6, 0x0
	.amdhsa_kernel _ZN4vllm15rms_norm_kernelIfLi16ELi2EEEvPT_PKS1_lllllS4_fii
		.amdhsa_group_segment_fixed_size 132
		.amdhsa_private_segment_fixed_size 0
		.amdhsa_kernarg_size 336
		.amdhsa_user_sgpr_count 15
		.amdhsa_user_sgpr_dispatch_ptr 0
		.amdhsa_user_sgpr_queue_ptr 0
		.amdhsa_user_sgpr_kernarg_segment_ptr 1
		.amdhsa_user_sgpr_dispatch_id 0
		.amdhsa_user_sgpr_private_segment_size 0
		.amdhsa_wavefront_size32 1
		.amdhsa_uses_dynamic_stack 0
		.amdhsa_enable_private_segment 0
		.amdhsa_system_sgpr_workgroup_id_x 1
		.amdhsa_system_sgpr_workgroup_id_y 0
		.amdhsa_system_sgpr_workgroup_id_z 0
		.amdhsa_system_sgpr_workgroup_info 0
		.amdhsa_system_vgpr_workitem_id 0
		.amdhsa_next_free_vgpr 37
		.amdhsa_next_free_sgpr 20
		.amdhsa_reserve_vcc 1
		.amdhsa_float_round_mode_32 0
		.amdhsa_float_round_mode_16_64 0
		.amdhsa_float_denorm_mode_32 3
		.amdhsa_float_denorm_mode_16_64 3
		.amdhsa_dx10_clamp 1
		.amdhsa_ieee_mode 1
		.amdhsa_fp16_overflow 0
		.amdhsa_workgroup_processor_mode 1
		.amdhsa_memory_ordered 1
		.amdhsa_forward_progress 0
		.amdhsa_shared_vgpr_count 0
		.amdhsa_exception_fp_ieee_invalid_op 0
		.amdhsa_exception_fp_denorm_src 0
		.amdhsa_exception_fp_ieee_div_zero 0
		.amdhsa_exception_fp_ieee_overflow 0
		.amdhsa_exception_fp_ieee_underflow 0
		.amdhsa_exception_fp_ieee_inexact 0
		.amdhsa_exception_int_div_zero 0
	.end_amdhsa_kernel
	.section	.text._ZN4vllm15rms_norm_kernelIfLi16ELi2EEEvPT_PKS1_lllllS4_fii,"axG",@progbits,_ZN4vllm15rms_norm_kernelIfLi16ELi2EEEvPT_PKS1_lllllS4_fii,comdat
.Lfunc_end0:
	.size	_ZN4vllm15rms_norm_kernelIfLi16ELi2EEEvPT_PKS1_lllllS4_fii, .Lfunc_end0-_ZN4vllm15rms_norm_kernelIfLi16ELi2EEEvPT_PKS1_lllllS4_fii
                                        ; -- End function
	.section	.AMDGPU.csdata,"",@progbits
; Kernel info:
; codeLenInByte = 2256
; NumSgprs: 22
; NumVgprs: 37
; ScratchSize: 0
; MemoryBound: 0
; FloatMode: 240
; IeeeMode: 1
; LDSByteSize: 132 bytes/workgroup (compile time only)
; SGPRBlocks: 2
; VGPRBlocks: 4
; NumSGPRsForWavesPerEU: 22
; NumVGPRsForWavesPerEU: 37
; Occupancy: 16
; WaveLimiterHint : 0
; COMPUTE_PGM_RSRC2:SCRATCH_EN: 0
; COMPUTE_PGM_RSRC2:USER_SGPR: 15
; COMPUTE_PGM_RSRC2:TRAP_HANDLER: 0
; COMPUTE_PGM_RSRC2:TGID_X_EN: 1
; COMPUTE_PGM_RSRC2:TGID_Y_EN: 0
; COMPUTE_PGM_RSRC2:TGID_Z_EN: 0
; COMPUTE_PGM_RSRC2:TIDIG_COMP_CNT: 0
	.section	.text._ZN4vllm15rms_norm_kernelIfLi8ELi2EEEvPT_PKS1_lllllS4_fii,"axG",@progbits,_ZN4vllm15rms_norm_kernelIfLi8ELi2EEEvPT_PKS1_lllllS4_fii,comdat
	.protected	_ZN4vllm15rms_norm_kernelIfLi8ELi2EEEvPT_PKS1_lllllS4_fii ; -- Begin function _ZN4vllm15rms_norm_kernelIfLi8ELi2EEEvPT_PKS1_lllllS4_fii
	.globl	_ZN4vllm15rms_norm_kernelIfLi8ELi2EEEvPT_PKS1_lllllS4_fii
	.p2align	8
	.type	_ZN4vllm15rms_norm_kernelIfLi8ELi2EEEvPT_PKS1_lllllS4_fii,@function
_ZN4vllm15rms_norm_kernelIfLi8ELi2EEEvPT_PKS1_lllllS4_fii: ; @_ZN4vllm15rms_norm_kernelIfLi8ELi2EEEvPT_PKS1_lllllS4_fii
; %bb.0:
	s_clause 0x2
	s_load_b128 s[4:7], s[0:1], 0x8
	s_load_b32 s2, s[0:1], 0x5c
	s_load_b32 s3, s[0:1], 0x48
	s_mov_b32 s9, 0
	s_waitcnt lgkmcnt(0)
	s_mul_i32 s7, s15, s7
	s_mul_hi_u32 s8, s15, s6
	s_mul_i32 s6, s15, s6
	s_add_i32 s7, s8, s7
	s_delay_alu instid0(SALU_CYCLE_1) | instskip(NEXT) | instid1(SALU_CYCLE_1)
	s_lshl_b64 s[6:7], s[6:7], 2
	s_add_u32 s10, s4, s6
	s_addc_u32 s11, s5, s7
	s_and_b32 s8, s10, 31
	s_and_b32 s12, s2, 0xffff
	s_cmp_lg_u64 s[8:9], 0
	s_cselect_b32 s2, -1, 0
	s_and_b32 s8, s3, 7
	s_delay_alu instid0(SALU_CYCLE_1) | instskip(SKIP_1) | instid1(SALU_CYCLE_1)
	s_cmp_lg_u32 s8, 0
	s_cselect_b32 s8, -1, 0
	s_or_b32 s2, s2, s8
	s_delay_alu instid0(SALU_CYCLE_1)
	s_and_b32 vcc_lo, exec_lo, s2
	s_cbranch_vccz .LBB1_14
; %bb.1:
	s_sub_i32 s2, 0, s10
	v_mov_b32_e32 v4, 0
	s_bfe_u32 s2, s2, 0x30002
	s_mov_b32 s9, exec_lo
	s_min_i32 s8, s2, s3
	s_delay_alu instid0(SALU_CYCLE_1)
	v_cmpx_gt_i32_e64 s8, v0
	s_cbranch_execz .LBB1_5
; %bb.2:
	v_dual_mov_b32 v4, 0 :: v_dual_lshlrev_b32 v1, 2, v0
	s_add_u32 s2, s4, s6
	s_addc_u32 s13, s5, s7
	v_mov_b32_e32 v3, v0
	s_delay_alu instid0(VALU_DEP_2) | instskip(NEXT) | instid1(VALU_DEP_1)
	v_add_co_u32 v1, s2, s2, v1
	v_add_co_ci_u32_e64 v2, null, s13, 0, s2
	s_mov_b32 s13, 0
	s_lshl_b32 s14, s12, 2
.LBB1_3:                                ; =>This Inner Loop Header: Depth=1
	global_load_b32 v5, v[1:2], off
	v_add_nc_u32_e32 v3, s12, v3
	v_add_co_u32 v1, vcc_lo, v1, s14
	v_add_co_ci_u32_e32 v2, vcc_lo, 0, v2, vcc_lo
	s_waitcnt vmcnt(0)
	v_fmac_f32_e32 v4, v5, v5
	v_cmp_le_i32_e64 s2, s8, v3
	s_delay_alu instid0(VALU_DEP_1) | instskip(NEXT) | instid1(SALU_CYCLE_1)
	s_or_b32 s13, s2, s13
	s_and_not1_b32 exec_lo, exec_lo, s13
	s_cbranch_execnz .LBB1_3
; %bb.4:
	s_or_b32 exec_lo, exec_lo, s13
.LBB1_5:
	s_delay_alu instid0(SALU_CYCLE_1)
	s_or_b32 exec_lo, exec_lo, s9
	s_sub_i32 s13, s3, s8
	s_ashr_i32 s9, s8, 31
	s_ashr_i32 s2, s13, 31
	s_mov_b32 s16, exec_lo
	s_lshr_b32 s2, s2, 29
	s_delay_alu instid0(SALU_CYCLE_1) | instskip(NEXT) | instid1(SALU_CYCLE_1)
	s_add_i32 s2, s13, s2
	s_ashr_i32 s14, s2, 3
	s_delay_alu instid0(SALU_CYCLE_1)
	v_cmpx_gt_i32_e64 s14, v0
	s_cbranch_execz .LBB1_9
; %bb.6:
	s_lshl_b64 s[18:19], s[8:9], 2
	v_lshlrev_b32_e32 v1, 5, v0
	s_add_u32 s2, s4, s18
	s_addc_u32 s17, s5, s19
	s_add_u32 s2, s2, s6
	s_addc_u32 s17, s17, s7
	v_add_co_u32 v1, s2, s2, v1
	s_delay_alu instid0(VALU_DEP_1)
	v_add_co_ci_u32_e64 v2, null, s17, 0, s2
	v_mov_b32_e32 v3, v0
	s_mov_b32 s17, 0
	s_lshl_b32 s18, s12, 5
	.p2align	6
.LBB1_7:                                ; =>This Inner Loop Header: Depth=1
	s_clause 0x1
	global_load_b128 v[5:8], v[1:2], off
	global_load_b128 v[9:12], v[1:2], off offset:16
	v_add_co_u32 v1, vcc_lo, v1, s18
	v_add_co_ci_u32_e32 v2, vcc_lo, 0, v2, vcc_lo
	v_add_nc_u32_e32 v3, s12, v3
	s_delay_alu instid0(VALU_DEP_1) | instskip(NEXT) | instid1(VALU_DEP_1)
	v_cmp_le_i32_e64 s2, s14, v3
	s_or_b32 s17, s2, s17
	s_waitcnt vmcnt(1)
	v_fmac_f32_e32 v4, v5, v5
	s_delay_alu instid0(VALU_DEP_1) | instskip(NEXT) | instid1(VALU_DEP_1)
	v_fmac_f32_e32 v4, v6, v6
	v_fmac_f32_e32 v4, v7, v7
	s_delay_alu instid0(VALU_DEP_1) | instskip(SKIP_1) | instid1(VALU_DEP_1)
	v_fmac_f32_e32 v4, v8, v8
	s_waitcnt vmcnt(0)
	v_fmac_f32_e32 v4, v9, v9
	s_delay_alu instid0(VALU_DEP_1) | instskip(NEXT) | instid1(VALU_DEP_1)
	v_fmac_f32_e32 v4, v10, v10
	v_fmac_f32_e32 v4, v11, v11
	s_delay_alu instid0(VALU_DEP_1)
	v_fmac_f32_e32 v4, v12, v12
	s_and_not1_b32 exec_lo, exec_lo, s17
	s_cbranch_execnz .LBB1_7
; %bb.8:
	s_or_b32 exec_lo, exec_lo, s17
.LBB1_9:
	s_delay_alu instid0(SALU_CYCLE_1) | instskip(SKIP_2) | instid1(VALU_DEP_1)
	s_or_b32 exec_lo, exec_lo, s16
	v_lshl_add_u32 v1, s14, 3, v0
	s_mov_b32 s14, exec_lo
	v_cmpx_gt_i32_e64 s13, v1
	s_cbranch_execz .LBB1_13
; %bb.10:
	v_ashrrev_i32_e32 v2, 31, v1
	s_lshl_b64 s[8:9], s[8:9], 2
	s_delay_alu instid0(SALU_CYCLE_1) | instskip(SKIP_1) | instid1(VALU_DEP_1)
	s_add_u32 s2, s6, s8
	s_addc_u32 s8, s7, s9
	v_lshlrev_b64 v[2:3], 2, v[1:2]
	s_add_u32 s2, s4, s2
	s_addc_u32 s8, s5, s8
	s_lshl_b32 s9, s12, 2
	s_delay_alu instid0(VALU_DEP_1) | instskip(NEXT) | instid1(VALU_DEP_2)
	v_add_co_u32 v2, vcc_lo, s2, v2
	v_add_co_ci_u32_e32 v3, vcc_lo, s8, v3, vcc_lo
	s_mov_b32 s8, 0
.LBB1_11:                               ; =>This Inner Loop Header: Depth=1
	global_load_b32 v5, v[2:3], off
	v_add_nc_u32_e32 v1, s12, v1
	v_add_co_u32 v2, vcc_lo, v2, s9
	v_add_co_ci_u32_e32 v3, vcc_lo, 0, v3, vcc_lo
	s_delay_alu instid0(VALU_DEP_3) | instskip(NEXT) | instid1(VALU_DEP_1)
	v_cmp_le_i32_e64 s2, s13, v1
	s_or_b32 s8, s2, s8
	s_waitcnt vmcnt(0)
	v_fmac_f32_e32 v4, v5, v5
	s_and_not1_b32 exec_lo, exec_lo, s8
	s_cbranch_execnz .LBB1_11
; %bb.12:
	s_or_b32 exec_lo, exec_lo, s8
.LBB1_13:
	s_delay_alu instid0(SALU_CYCLE_1)
	s_or_b32 exec_lo, exec_lo, s14
	s_branch .LBB1_20
.LBB1_14:
                                        ; implicit-def: $vgpr4
	s_cbranch_execz .LBB1_20
; %bb.15:
	v_mov_b32_e32 v4, 0
	s_ashr_i32 s9, s3, 3
	s_mov_b32 s8, exec_lo
	v_cmpx_gt_i32_e64 s9, v0
	s_cbranch_execz .LBB1_19
; %bb.16:
	v_dual_mov_b32 v4, 0 :: v_dual_lshlrev_b32 v1, 5, v0
	s_add_u32 s2, s4, s6
	s_addc_u32 s4, s5, s7
	v_mov_b32_e32 v3, v0
	s_delay_alu instid0(VALU_DEP_2) | instskip(NEXT) | instid1(VALU_DEP_1)
	v_add_co_u32 v1, s2, s2, v1
	v_add_co_ci_u32_e64 v2, null, s4, 0, s2
	s_mov_b32 s4, 0
	s_lshl_b32 s5, s12, 5
	.p2align	6
.LBB1_17:                               ; =>This Inner Loop Header: Depth=1
	s_clause 0x1
	global_load_b128 v[5:8], v[1:2], off
	global_load_b128 v[9:12], v[1:2], off offset:16
	v_add_co_u32 v1, vcc_lo, v1, s5
	v_add_co_ci_u32_e32 v2, vcc_lo, 0, v2, vcc_lo
	v_add_nc_u32_e32 v3, s12, v3
	s_delay_alu instid0(VALU_DEP_1) | instskip(NEXT) | instid1(VALU_DEP_1)
	v_cmp_le_i32_e64 s2, s9, v3
	s_or_b32 s4, s2, s4
	s_waitcnt vmcnt(1)
	v_fmac_f32_e32 v4, v5, v5
	s_delay_alu instid0(VALU_DEP_1) | instskip(NEXT) | instid1(VALU_DEP_1)
	v_fmac_f32_e32 v4, v6, v6
	v_fmac_f32_e32 v4, v7, v7
	s_delay_alu instid0(VALU_DEP_1) | instskip(SKIP_1) | instid1(VALU_DEP_1)
	v_fmac_f32_e32 v4, v8, v8
	s_waitcnt vmcnt(0)
	v_fmac_f32_e32 v4, v9, v9
	s_delay_alu instid0(VALU_DEP_1) | instskip(NEXT) | instid1(VALU_DEP_1)
	v_fmac_f32_e32 v4, v10, v10
	v_fmac_f32_e32 v4, v11, v11
	s_delay_alu instid0(VALU_DEP_1)
	v_fmac_f32_e32 v4, v12, v12
	s_and_not1_b32 exec_lo, exec_lo, s4
	s_cbranch_execnz .LBB1_17
; %bb.18:
	s_or_b32 exec_lo, exec_lo, s4
.LBB1_19:
	s_delay_alu instid0(SALU_CYCLE_1)
	s_or_b32 exec_lo, exec_lo, s8
.LBB1_20:
	v_mbcnt_lo_u32_b32 v1, -1, 0
	v_and_b32_e32 v3, 0x3e0, v0
	s_mov_b32 s2, exec_lo
	s_delay_alu instid0(VALU_DEP_2) | instskip(NEXT) | instid1(VALU_DEP_2)
	v_cmp_ne_u32_e32 vcc_lo, 31, v1
	v_sub_nc_u32_e64 v12, s12, v3 clamp
	v_add_nc_u32_e32 v3, 1, v1
	v_add_co_ci_u32_e32 v2, vcc_lo, 0, v1, vcc_lo
	v_cmp_gt_u32_e32 vcc_lo, 30, v1
	s_delay_alu instid0(VALU_DEP_2)
	v_lshlrev_b32_e32 v2, 2, v2
	v_cndmask_b32_e64 v6, 0, 1, vcc_lo
	v_cmp_lt_u32_e32 vcc_lo, v3, v12
	ds_bpermute_b32 v5, v2, v4
	s_waitcnt lgkmcnt(0)
	v_dual_add_f32 v7, v4, v5 :: v_dual_lshlrev_b32 v6, 1, v6
	s_delay_alu instid0(VALU_DEP_1) | instskip(NEXT) | instid1(VALU_DEP_2)
	v_cndmask_b32_e32 v7, v4, v7, vcc_lo
	v_add_lshl_u32 v5, v6, v1, 2
	v_cmp_gt_u32_e32 vcc_lo, 28, v1
	ds_bpermute_b32 v6, v5, v7
	v_cndmask_b32_e64 v4, 0, 1, vcc_lo
	s_delay_alu instid0(VALU_DEP_1) | instskip(SKIP_1) | instid1(VALU_DEP_1)
	v_lshlrev_b32_e32 v8, 2, v4
	v_add_nc_u32_e32 v4, 2, v1
	v_cmp_lt_u32_e32 vcc_lo, v4, v12
	s_waitcnt lgkmcnt(0)
	v_add_f32_e32 v9, v7, v6
	v_add_lshl_u32 v6, v8, v1, 2
	s_delay_alu instid0(VALU_DEP_2) | instskip(SKIP_2) | instid1(VALU_DEP_1)
	v_cndmask_b32_e32 v9, v7, v9, vcc_lo
	v_cmp_gt_u32_e32 vcc_lo, 24, v1
	v_cndmask_b32_e64 v7, 0, 1, vcc_lo
	v_lshlrev_b32_e32 v10, 3, v7
	ds_bpermute_b32 v8, v6, v9
	v_add_nc_u32_e32 v7, 4, v1
	s_delay_alu instid0(VALU_DEP_1) | instskip(SKIP_3) | instid1(VALU_DEP_2)
	v_cmp_lt_u32_e32 vcc_lo, v7, v12
	s_waitcnt lgkmcnt(0)
	v_add_f32_e32 v11, v9, v8
	v_add_lshl_u32 v8, v10, v1, 2
	v_cndmask_b32_e32 v11, v9, v11, vcc_lo
	v_cmp_gt_u32_e32 vcc_lo, 16, v1
	ds_bpermute_b32 v10, v8, v11
	v_cndmask_b32_e64 v9, 0, 1, vcc_lo
	s_delay_alu instid0(VALU_DEP_1) | instskip(SKIP_1) | instid1(VALU_DEP_1)
	v_lshlrev_b32_e32 v13, 4, v9
	v_add_nc_u32_e32 v9, 8, v1
	v_cmp_lt_u32_e32 vcc_lo, v9, v12
	s_waitcnt lgkmcnt(0)
	v_add_f32_e32 v14, v11, v10
	v_add_lshl_u32 v10, v13, v1, 2
	s_delay_alu instid0(VALU_DEP_2)
	v_cndmask_b32_e32 v13, v11, v14, vcc_lo
	v_add_nc_u32_e32 v11, 16, v1
	ds_bpermute_b32 v14, v10, v13
	v_cmp_lt_u32_e32 vcc_lo, v11, v12
	s_waitcnt lgkmcnt(0)
	v_add_f32_e32 v14, v13, v14
	s_delay_alu instid0(VALU_DEP_1)
	v_cndmask_b32_e32 v12, v13, v14, vcc_lo
	v_cmpx_eq_u32_e32 0, v1
	s_cbranch_execz .LBB1_22
; %bb.21:
	v_lshrrev_b32_e32 v13, 3, v0
	s_delay_alu instid0(VALU_DEP_1)
	v_and_b32_e32 v13, 0x7c, v13
	ds_store_b32 v13, v12
.LBB1_22:
	s_or_b32 exec_lo, exec_lo, s2
	s_delay_alu instid0(SALU_CYCLE_1)
	s_mov_b32 s2, exec_lo
	s_waitcnt lgkmcnt(0)
	s_barrier
	buffer_gl0_inv
	v_cmpx_gt_u32_e32 32, v0
	s_cbranch_execz .LBB1_24
; %bb.23:
	v_lshlrev_b32_e32 v1, 2, v1
	s_add_i32 s4, s12, 31
	s_delay_alu instid0(SALU_CYCLE_1) | instskip(NEXT) | instid1(SALU_CYCLE_1)
	s_lshr_b32 s4, s4, 5
	v_cmp_gt_u32_e32 vcc_lo, s4, v3
	ds_load_b32 v1, v1
	s_waitcnt lgkmcnt(0)
	ds_bpermute_b32 v2, v2, v1
	s_waitcnt lgkmcnt(0)
	v_add_f32_e32 v2, v1, v2
	s_delay_alu instid0(VALU_DEP_1) | instskip(SKIP_4) | instid1(VALU_DEP_1)
	v_cndmask_b32_e32 v1, v1, v2, vcc_lo
	v_cmp_gt_u32_e32 vcc_lo, s4, v4
	ds_bpermute_b32 v2, v5, v1
	s_waitcnt lgkmcnt(0)
	v_add_f32_e32 v2, v1, v2
	v_cndmask_b32_e32 v1, v1, v2, vcc_lo
	v_cmp_gt_u32_e32 vcc_lo, s4, v7
	ds_bpermute_b32 v2, v6, v1
	s_waitcnt lgkmcnt(0)
	v_add_f32_e32 v2, v1, v2
	s_delay_alu instid0(VALU_DEP_1) | instskip(SKIP_4) | instid1(VALU_DEP_1)
	v_cndmask_b32_e32 v1, v1, v2, vcc_lo
	v_cmp_gt_u32_e32 vcc_lo, s4, v9
	ds_bpermute_b32 v2, v8, v1
	s_waitcnt lgkmcnt(0)
	v_add_f32_e32 v2, v1, v2
	v_cndmask_b32_e32 v1, v1, v2, vcc_lo
	v_cmp_gt_u32_e32 vcc_lo, s4, v11
	ds_bpermute_b32 v2, v10, v1
	s_waitcnt lgkmcnt(0)
	v_add_f32_e32 v2, v1, v2
	s_delay_alu instid0(VALU_DEP_1)
	v_cndmask_b32_e32 v12, v1, v2, vcc_lo
.LBB1_24:
	s_or_b32 exec_lo, exec_lo, s2
	s_delay_alu instid0(SALU_CYCLE_1)
	s_mov_b32 s2, exec_lo
	v_cmpx_eq_u32_e32 0, v0
	s_cbranch_execz .LBB1_26
; %bb.25:
	v_cvt_f32_i32_e32 v1, s3
	s_load_b32 s4, s[0:1], 0x40
	s_delay_alu instid0(VALU_DEP_1) | instskip(SKIP_1) | instid1(VALU_DEP_2)
	v_div_scale_f32 v2, null, v1, v1, v12
	v_div_scale_f32 v5, vcc_lo, v12, v1, v12
	v_rcp_f32_e32 v3, v2
	s_waitcnt_depctr 0xfff
	v_fma_f32 v4, -v2, v3, 1.0
	s_delay_alu instid0(VALU_DEP_1) | instskip(NEXT) | instid1(VALU_DEP_1)
	v_fmac_f32_e32 v3, v4, v3
	v_mul_f32_e32 v4, v5, v3
	s_delay_alu instid0(VALU_DEP_1) | instskip(NEXT) | instid1(VALU_DEP_1)
	v_fma_f32 v6, -v2, v4, v5
	v_fmac_f32_e32 v4, v6, v3
	s_delay_alu instid0(VALU_DEP_1) | instskip(NEXT) | instid1(VALU_DEP_1)
	v_fma_f32 v2, -v2, v4, v5
	v_div_fmas_f32 v2, v2, v3, v4
	s_delay_alu instid0(VALU_DEP_1) | instskip(SKIP_1) | instid1(VALU_DEP_1)
	v_div_fixup_f32 v1, v2, v1, v12
	s_waitcnt lgkmcnt(0)
	v_add_f32_e32 v1, s4, v1
	s_delay_alu instid0(VALU_DEP_1) | instskip(SKIP_1) | instid1(VALU_DEP_2)
	v_mul_f32_e32 v2, 0x4b800000, v1
	v_cmp_gt_f32_e32 vcc_lo, 0x800000, v1
	v_cndmask_b32_e32 v1, v1, v2, vcc_lo
	s_delay_alu instid0(VALU_DEP_1) | instskip(SKIP_2) | instid1(VALU_DEP_1)
	v_rsq_f32_e32 v1, v1
	s_waitcnt_depctr 0xfff
	v_mul_f32_e32 v2, 0x45800000, v1
	v_dual_cndmask_b32 v1, v1, v2 :: v_dual_mov_b32 v2, 0
	ds_store_b32 v2, v1 offset:128
.LBB1_26:
	s_or_b32 exec_lo, exec_lo, s2
	s_ashr_i32 s2, s3, 31
	s_waitcnt lgkmcnt(0)
	s_lshr_b32 s2, s2, 29
	s_barrier
	s_add_i32 s2, s3, s2
	buffer_gl0_inv
	s_ashr_i32 s4, s2, 3
	s_mov_b32 s2, exec_lo
	v_cmpx_gt_i32_e64 s4, v0
	s_cbranch_execz .LBB1_29
; %bb.27:
	v_dual_mov_b32 v1, 0 :: v_dual_lshlrev_b32 v2, 5, v0
	s_clause 0x1
	s_load_b64 s[6:7], s[0:1], 0x0
	s_load_b64 s[0:1], s[0:1], 0x38
	s_mul_i32 s2, s15, s3
	s_mov_b32 s3, 0
	ds_load_b32 v1, v1 offset:128
	s_lshl_b64 s[8:9], s[2:3], 2
	s_waitcnt lgkmcnt(0)
	s_add_u32 s2, s6, s8
	s_addc_u32 s5, s7, s9
	s_lshl_b32 s6, s12, 5
.LBB1_28:                               ; =>This Inner Loop Header: Depth=1
	v_add_co_u32 v7, s7, s10, v2
	s_delay_alu instid0(VALU_DEP_1) | instskip(SKIP_1) | instid1(VALU_DEP_1)
	v_add_co_ci_u32_e64 v8, null, s11, 0, s7
	v_add_co_u32 v15, s7, s0, v2
	v_add_co_ci_u32_e64 v16, null, s1, 0, s7
	s_clause 0x1
	global_load_b128 v[3:6], v[7:8], off
	global_load_b128 v[7:10], v[7:8], off offset:16
	s_clause 0x1
	global_load_b128 v[11:14], v[15:16], off
	global_load_b128 v[15:18], v[15:16], off offset:16
	v_add_nc_u32_e32 v0, s12, v0
	v_add_co_u32 v19, s7, s2, v2
	s_add_u32 s2, s2, s6
	v_add_co_ci_u32_e64 v20, null, s5, 0, s7
	s_addc_u32 s5, s5, 0
	s_add_u32 s10, s10, s6
	s_addc_u32 s11, s11, 0
	s_add_u32 s0, s0, s6
	s_addc_u32 s1, s1, 0
	s_waitcnt vmcnt(3)
	v_mul_f32_e32 v3, v3, v1
	v_mul_f32_e32 v4, v4, v1
	s_waitcnt vmcnt(2)
	v_mul_f32_e32 v7, v7, v1
	v_mul_f32_e32 v6, v6, v1
	s_waitcnt vmcnt(1)
	v_dual_mul_f32 v8, v8, v1 :: v_dual_mul_f32 v3, v3, v11
	v_dual_mul_f32 v5, v5, v1 :: v_dual_mul_f32 v4, v4, v12
	s_waitcnt vmcnt(0)
	s_delay_alu instid0(VALU_DEP_2) | instskip(SKIP_4) | instid1(VALU_DEP_4)
	v_dual_mul_f32 v9, v9, v1 :: v_dual_mul_f32 v8, v8, v16
	v_mul_f32_e32 v10, v10, v1
	v_cmp_le_i32_e32 vcc_lo, s4, v0
	v_mul_f32_e32 v5, v5, v13
	v_dual_mul_f32 v7, v7, v15 :: v_dual_mul_f32 v6, v6, v14
	v_dual_mul_f32 v10, v10, v18 :: v_dual_mul_f32 v9, v9, v17
	s_or_b32 s3, vcc_lo, s3
	s_clause 0x1
	global_store_b128 v[19:20], v[3:6], off
	global_store_b128 v[19:20], v[7:10], off offset:16
	s_and_not1_b32 exec_lo, exec_lo, s3
	s_cbranch_execnz .LBB1_28
.LBB1_29:
	s_nop 0
	s_sendmsg sendmsg(MSG_DEALLOC_VGPRS)
	s_endpgm
	.section	.rodata,"a",@progbits
	.p2align	6, 0x0
	.amdhsa_kernel _ZN4vllm15rms_norm_kernelIfLi8ELi2EEEvPT_PKS1_lllllS4_fii
		.amdhsa_group_segment_fixed_size 132
		.amdhsa_private_segment_fixed_size 0
		.amdhsa_kernarg_size 336
		.amdhsa_user_sgpr_count 15
		.amdhsa_user_sgpr_dispatch_ptr 0
		.amdhsa_user_sgpr_queue_ptr 0
		.amdhsa_user_sgpr_kernarg_segment_ptr 1
		.amdhsa_user_sgpr_dispatch_id 0
		.amdhsa_user_sgpr_private_segment_size 0
		.amdhsa_wavefront_size32 1
		.amdhsa_uses_dynamic_stack 0
		.amdhsa_enable_private_segment 0
		.amdhsa_system_sgpr_workgroup_id_x 1
		.amdhsa_system_sgpr_workgroup_id_y 0
		.amdhsa_system_sgpr_workgroup_id_z 0
		.amdhsa_system_sgpr_workgroup_info 0
		.amdhsa_system_vgpr_workitem_id 0
		.amdhsa_next_free_vgpr 21
		.amdhsa_next_free_sgpr 20
		.amdhsa_reserve_vcc 1
		.amdhsa_float_round_mode_32 0
		.amdhsa_float_round_mode_16_64 0
		.amdhsa_float_denorm_mode_32 3
		.amdhsa_float_denorm_mode_16_64 3
		.amdhsa_dx10_clamp 1
		.amdhsa_ieee_mode 1
		.amdhsa_fp16_overflow 0
		.amdhsa_workgroup_processor_mode 1
		.amdhsa_memory_ordered 1
		.amdhsa_forward_progress 0
		.amdhsa_shared_vgpr_count 0
		.amdhsa_exception_fp_ieee_invalid_op 0
		.amdhsa_exception_fp_denorm_src 0
		.amdhsa_exception_fp_ieee_div_zero 0
		.amdhsa_exception_fp_ieee_overflow 0
		.amdhsa_exception_fp_ieee_underflow 0
		.amdhsa_exception_fp_ieee_inexact 0
		.amdhsa_exception_int_div_zero 0
	.end_amdhsa_kernel
	.section	.text._ZN4vllm15rms_norm_kernelIfLi8ELi2EEEvPT_PKS1_lllllS4_fii,"axG",@progbits,_ZN4vllm15rms_norm_kernelIfLi8ELi2EEEvPT_PKS1_lllllS4_fii,comdat
.Lfunc_end1:
	.size	_ZN4vllm15rms_norm_kernelIfLi8ELi2EEEvPT_PKS1_lllllS4_fii, .Lfunc_end1-_ZN4vllm15rms_norm_kernelIfLi8ELi2EEEvPT_PKS1_lllllS4_fii
                                        ; -- End function
	.section	.AMDGPU.csdata,"",@progbits
; Kernel info:
; codeLenInByte = 1972
; NumSgprs: 22
; NumVgprs: 21
; ScratchSize: 0
; MemoryBound: 0
; FloatMode: 240
; IeeeMode: 1
; LDSByteSize: 132 bytes/workgroup (compile time only)
; SGPRBlocks: 2
; VGPRBlocks: 2
; NumSGPRsForWavesPerEU: 22
; NumVGPRsForWavesPerEU: 21
; Occupancy: 16
; WaveLimiterHint : 0
; COMPUTE_PGM_RSRC2:SCRATCH_EN: 0
; COMPUTE_PGM_RSRC2:USER_SGPR: 15
; COMPUTE_PGM_RSRC2:TRAP_HANDLER: 0
; COMPUTE_PGM_RSRC2:TGID_X_EN: 1
; COMPUTE_PGM_RSRC2:TGID_Y_EN: 0
; COMPUTE_PGM_RSRC2:TGID_Z_EN: 0
; COMPUTE_PGM_RSRC2:TIDIG_COMP_CNT: 0
	.section	.text._ZN4vllm15rms_norm_kernelIfLi4ELi2EEEvPT_PKS1_lllllS4_fii,"axG",@progbits,_ZN4vllm15rms_norm_kernelIfLi4ELi2EEEvPT_PKS1_lllllS4_fii,comdat
	.protected	_ZN4vllm15rms_norm_kernelIfLi4ELi2EEEvPT_PKS1_lllllS4_fii ; -- Begin function _ZN4vllm15rms_norm_kernelIfLi4ELi2EEEvPT_PKS1_lllllS4_fii
	.globl	_ZN4vllm15rms_norm_kernelIfLi4ELi2EEEvPT_PKS1_lllllS4_fii
	.p2align	8
	.type	_ZN4vllm15rms_norm_kernelIfLi4ELi2EEEvPT_PKS1_lllllS4_fii,@function
_ZN4vllm15rms_norm_kernelIfLi4ELi2EEEvPT_PKS1_lllllS4_fii: ; @_ZN4vllm15rms_norm_kernelIfLi4ELi2EEEvPT_PKS1_lllllS4_fii
; %bb.0:
	s_clause 0x2
	s_load_b128 s[4:7], s[0:1], 0x8
	s_load_b32 s2, s[0:1], 0x5c
	s_load_b32 s3, s[0:1], 0x48
	s_mov_b32 s9, 0
	s_waitcnt lgkmcnt(0)
	s_mul_i32 s7, s15, s7
	s_mul_hi_u32 s8, s15, s6
	s_mul_i32 s6, s15, s6
	s_add_i32 s7, s8, s7
	s_delay_alu instid0(SALU_CYCLE_1) | instskip(NEXT) | instid1(SALU_CYCLE_1)
	s_lshl_b64 s[6:7], s[6:7], 2
	s_add_u32 s10, s4, s6
	s_addc_u32 s11, s5, s7
	s_and_b32 s8, s10, 15
	s_and_b32 s12, s2, 0xffff
	s_cmp_lg_u64 s[8:9], 0
	s_cselect_b32 s2, -1, 0
	s_and_b32 s8, s3, 3
	s_delay_alu instid0(SALU_CYCLE_1) | instskip(SKIP_1) | instid1(SALU_CYCLE_1)
	s_cmp_lg_u32 s8, 0
	s_cselect_b32 s8, -1, 0
	s_or_b32 s2, s2, s8
	s_delay_alu instid0(SALU_CYCLE_1)
	s_and_b32 vcc_lo, exec_lo, s2
	s_cbranch_vccz .LBB2_14
; %bb.1:
	s_sub_i32 s2, 0, s10
	v_mov_b32_e32 v4, 0
	s_bfe_u32 s2, s2, 0x20002
	s_mov_b32 s9, exec_lo
	s_min_i32 s8, s2, s3
	s_delay_alu instid0(SALU_CYCLE_1)
	v_cmpx_gt_i32_e64 s8, v0
	s_cbranch_execz .LBB2_5
; %bb.2:
	v_dual_mov_b32 v4, 0 :: v_dual_lshlrev_b32 v1, 2, v0
	s_add_u32 s2, s4, s6
	s_addc_u32 s13, s5, s7
	v_mov_b32_e32 v3, v0
	s_delay_alu instid0(VALU_DEP_2) | instskip(NEXT) | instid1(VALU_DEP_1)
	v_add_co_u32 v1, s2, s2, v1
	v_add_co_ci_u32_e64 v2, null, s13, 0, s2
	s_mov_b32 s13, 0
	s_lshl_b32 s14, s12, 2
.LBB2_3:                                ; =>This Inner Loop Header: Depth=1
	global_load_b32 v5, v[1:2], off
	v_add_nc_u32_e32 v3, s12, v3
	v_add_co_u32 v1, vcc_lo, v1, s14
	v_add_co_ci_u32_e32 v2, vcc_lo, 0, v2, vcc_lo
	s_waitcnt vmcnt(0)
	v_fmac_f32_e32 v4, v5, v5
	v_cmp_le_i32_e64 s2, s8, v3
	s_delay_alu instid0(VALU_DEP_1) | instskip(NEXT) | instid1(SALU_CYCLE_1)
	s_or_b32 s13, s2, s13
	s_and_not1_b32 exec_lo, exec_lo, s13
	s_cbranch_execnz .LBB2_3
; %bb.4:
	s_or_b32 exec_lo, exec_lo, s13
.LBB2_5:
	s_delay_alu instid0(SALU_CYCLE_1)
	s_or_b32 exec_lo, exec_lo, s9
	s_sub_i32 s13, s3, s8
	s_ashr_i32 s9, s8, 31
	s_ashr_i32 s2, s13, 31
	s_mov_b32 s16, exec_lo
	s_lshr_b32 s2, s2, 30
	s_delay_alu instid0(SALU_CYCLE_1) | instskip(NEXT) | instid1(SALU_CYCLE_1)
	s_add_i32 s2, s13, s2
	s_ashr_i32 s14, s2, 2
	s_delay_alu instid0(SALU_CYCLE_1)
	v_cmpx_gt_i32_e64 s14, v0
	s_cbranch_execz .LBB2_9
; %bb.6:
	s_lshl_b64 s[18:19], s[8:9], 2
	v_lshlrev_b32_e32 v1, 4, v0
	s_add_u32 s2, s4, s18
	s_addc_u32 s17, s5, s19
	s_add_u32 s2, s2, s6
	s_addc_u32 s17, s17, s7
	v_add_co_u32 v1, s2, s2, v1
	s_delay_alu instid0(VALU_DEP_1) | instskip(SKIP_1) | instid1(VALU_DEP_3)
	v_add_co_ci_u32_e64 v2, null, s17, 0, s2
	v_mov_b32_e32 v3, v0
	v_add_co_u32 v1, vcc_lo, v1, 8
	s_delay_alu instid0(VALU_DEP_3)
	v_add_co_ci_u32_e32 v2, vcc_lo, 0, v2, vcc_lo
	s_mov_b32 s17, 0
	s_lshl_b32 s18, s12, 4
.LBB2_7:                                ; =>This Inner Loop Header: Depth=1
	global_load_b128 v[5:8], v[1:2], off offset:-8
	v_add_co_u32 v1, vcc_lo, v1, s18
	v_add_co_ci_u32_e32 v2, vcc_lo, 0, v2, vcc_lo
	v_add_nc_u32_e32 v3, s12, v3
	s_delay_alu instid0(VALU_DEP_1) | instskip(NEXT) | instid1(VALU_DEP_1)
	v_cmp_le_i32_e64 s2, s14, v3
	s_or_b32 s17, s2, s17
	s_waitcnt vmcnt(0)
	v_fmac_f32_e32 v4, v5, v5
	s_delay_alu instid0(VALU_DEP_1) | instskip(NEXT) | instid1(VALU_DEP_1)
	v_fmac_f32_e32 v4, v6, v6
	v_fmac_f32_e32 v4, v7, v7
	s_delay_alu instid0(VALU_DEP_1)
	v_fmac_f32_e32 v4, v8, v8
	s_and_not1_b32 exec_lo, exec_lo, s17
	s_cbranch_execnz .LBB2_7
; %bb.8:
	s_or_b32 exec_lo, exec_lo, s17
.LBB2_9:
	s_delay_alu instid0(SALU_CYCLE_1) | instskip(SKIP_2) | instid1(VALU_DEP_1)
	s_or_b32 exec_lo, exec_lo, s16
	v_lshl_add_u32 v1, s14, 2, v0
	s_mov_b32 s14, exec_lo
	v_cmpx_gt_i32_e64 s13, v1
	s_cbranch_execz .LBB2_13
; %bb.10:
	v_ashrrev_i32_e32 v2, 31, v1
	s_lshl_b64 s[8:9], s[8:9], 2
	s_delay_alu instid0(SALU_CYCLE_1) | instskip(SKIP_1) | instid1(VALU_DEP_1)
	s_add_u32 s2, s6, s8
	s_addc_u32 s8, s7, s9
	v_lshlrev_b64 v[2:3], 2, v[1:2]
	s_add_u32 s2, s4, s2
	s_addc_u32 s8, s5, s8
	s_lshl_b32 s9, s12, 2
	s_delay_alu instid0(VALU_DEP_1) | instskip(NEXT) | instid1(VALU_DEP_2)
	v_add_co_u32 v2, vcc_lo, s2, v2
	v_add_co_ci_u32_e32 v3, vcc_lo, s8, v3, vcc_lo
	s_mov_b32 s8, 0
.LBB2_11:                               ; =>This Inner Loop Header: Depth=1
	global_load_b32 v5, v[2:3], off
	v_add_nc_u32_e32 v1, s12, v1
	v_add_co_u32 v2, vcc_lo, v2, s9
	v_add_co_ci_u32_e32 v3, vcc_lo, 0, v3, vcc_lo
	s_delay_alu instid0(VALU_DEP_3) | instskip(NEXT) | instid1(VALU_DEP_1)
	v_cmp_le_i32_e64 s2, s13, v1
	s_or_b32 s8, s2, s8
	s_waitcnt vmcnt(0)
	v_fmac_f32_e32 v4, v5, v5
	s_and_not1_b32 exec_lo, exec_lo, s8
	s_cbranch_execnz .LBB2_11
; %bb.12:
	s_or_b32 exec_lo, exec_lo, s8
.LBB2_13:
	s_delay_alu instid0(SALU_CYCLE_1)
	s_or_b32 exec_lo, exec_lo, s14
	s_branch .LBB2_20
.LBB2_14:
                                        ; implicit-def: $vgpr4
	s_cbranch_execz .LBB2_20
; %bb.15:
	v_mov_b32_e32 v4, 0
	s_ashr_i32 s9, s3, 2
	s_mov_b32 s8, exec_lo
	v_cmpx_gt_i32_e64 s9, v0
	s_cbranch_execz .LBB2_19
; %bb.16:
	v_dual_mov_b32 v4, 0 :: v_dual_lshlrev_b32 v1, 4, v0
	s_add_u32 s2, s4, s6
	s_addc_u32 s4, s5, s7
	v_mov_b32_e32 v3, v0
	s_delay_alu instid0(VALU_DEP_2) | instskip(NEXT) | instid1(VALU_DEP_1)
	v_add_co_u32 v1, s2, s2, v1
	v_add_co_ci_u32_e64 v2, null, s4, 0, s2
	s_mov_b32 s4, 0
	s_delay_alu instid0(VALU_DEP_2) | instskip(NEXT) | instid1(VALU_DEP_2)
	v_add_co_u32 v1, vcc_lo, v1, 8
	v_add_co_ci_u32_e32 v2, vcc_lo, 0, v2, vcc_lo
	s_lshl_b32 s5, s12, 4
.LBB2_17:                               ; =>This Inner Loop Header: Depth=1
	global_load_b128 v[5:8], v[1:2], off offset:-8
	v_add_co_u32 v1, vcc_lo, v1, s5
	v_add_co_ci_u32_e32 v2, vcc_lo, 0, v2, vcc_lo
	v_add_nc_u32_e32 v3, s12, v3
	s_delay_alu instid0(VALU_DEP_1) | instskip(NEXT) | instid1(VALU_DEP_1)
	v_cmp_le_i32_e64 s2, s9, v3
	s_or_b32 s4, s2, s4
	s_waitcnt vmcnt(0)
	v_fmac_f32_e32 v4, v5, v5
	s_delay_alu instid0(VALU_DEP_1) | instskip(NEXT) | instid1(VALU_DEP_1)
	v_fmac_f32_e32 v4, v6, v6
	v_fmac_f32_e32 v4, v7, v7
	s_delay_alu instid0(VALU_DEP_1)
	v_fmac_f32_e32 v4, v8, v8
	s_and_not1_b32 exec_lo, exec_lo, s4
	s_cbranch_execnz .LBB2_17
; %bb.18:
	s_or_b32 exec_lo, exec_lo, s4
.LBB2_19:
	s_delay_alu instid0(SALU_CYCLE_1)
	s_or_b32 exec_lo, exec_lo, s8
.LBB2_20:
	v_mbcnt_lo_u32_b32 v1, -1, 0
	v_and_b32_e32 v3, 0x3e0, v0
	s_mov_b32 s2, exec_lo
	s_delay_alu instid0(VALU_DEP_2) | instskip(NEXT) | instid1(VALU_DEP_2)
	v_cmp_ne_u32_e32 vcc_lo, 31, v1
	v_sub_nc_u32_e64 v12, s12, v3 clamp
	v_add_nc_u32_e32 v3, 1, v1
	v_add_co_ci_u32_e32 v2, vcc_lo, 0, v1, vcc_lo
	v_cmp_gt_u32_e32 vcc_lo, 30, v1
	s_delay_alu instid0(VALU_DEP_2)
	v_lshlrev_b32_e32 v2, 2, v2
	v_cndmask_b32_e64 v6, 0, 1, vcc_lo
	v_cmp_lt_u32_e32 vcc_lo, v3, v12
	ds_bpermute_b32 v5, v2, v4
	s_waitcnt lgkmcnt(0)
	v_dual_add_f32 v7, v4, v5 :: v_dual_lshlrev_b32 v6, 1, v6
	s_delay_alu instid0(VALU_DEP_1) | instskip(NEXT) | instid1(VALU_DEP_2)
	v_cndmask_b32_e32 v7, v4, v7, vcc_lo
	v_add_lshl_u32 v5, v6, v1, 2
	v_cmp_gt_u32_e32 vcc_lo, 28, v1
	ds_bpermute_b32 v6, v5, v7
	v_cndmask_b32_e64 v4, 0, 1, vcc_lo
	s_delay_alu instid0(VALU_DEP_1) | instskip(SKIP_1) | instid1(VALU_DEP_1)
	v_lshlrev_b32_e32 v8, 2, v4
	v_add_nc_u32_e32 v4, 2, v1
	v_cmp_lt_u32_e32 vcc_lo, v4, v12
	s_waitcnt lgkmcnt(0)
	v_add_f32_e32 v9, v7, v6
	v_add_lshl_u32 v6, v8, v1, 2
	s_delay_alu instid0(VALU_DEP_2) | instskip(SKIP_2) | instid1(VALU_DEP_1)
	v_cndmask_b32_e32 v9, v7, v9, vcc_lo
	v_cmp_gt_u32_e32 vcc_lo, 24, v1
	v_cndmask_b32_e64 v7, 0, 1, vcc_lo
	v_lshlrev_b32_e32 v10, 3, v7
	ds_bpermute_b32 v8, v6, v9
	v_add_nc_u32_e32 v7, 4, v1
	s_delay_alu instid0(VALU_DEP_1) | instskip(SKIP_3) | instid1(VALU_DEP_2)
	v_cmp_lt_u32_e32 vcc_lo, v7, v12
	s_waitcnt lgkmcnt(0)
	v_add_f32_e32 v11, v9, v8
	v_add_lshl_u32 v8, v10, v1, 2
	v_cndmask_b32_e32 v11, v9, v11, vcc_lo
	v_cmp_gt_u32_e32 vcc_lo, 16, v1
	ds_bpermute_b32 v10, v8, v11
	v_cndmask_b32_e64 v9, 0, 1, vcc_lo
	s_delay_alu instid0(VALU_DEP_1) | instskip(SKIP_1) | instid1(VALU_DEP_1)
	v_lshlrev_b32_e32 v13, 4, v9
	v_add_nc_u32_e32 v9, 8, v1
	v_cmp_lt_u32_e32 vcc_lo, v9, v12
	s_waitcnt lgkmcnt(0)
	v_add_f32_e32 v14, v11, v10
	v_add_lshl_u32 v10, v13, v1, 2
	s_delay_alu instid0(VALU_DEP_2)
	v_cndmask_b32_e32 v13, v11, v14, vcc_lo
	v_add_nc_u32_e32 v11, 16, v1
	ds_bpermute_b32 v14, v10, v13
	v_cmp_lt_u32_e32 vcc_lo, v11, v12
	s_waitcnt lgkmcnt(0)
	v_add_f32_e32 v14, v13, v14
	s_delay_alu instid0(VALU_DEP_1)
	v_cndmask_b32_e32 v12, v13, v14, vcc_lo
	v_cmpx_eq_u32_e32 0, v1
	s_cbranch_execz .LBB2_22
; %bb.21:
	v_lshrrev_b32_e32 v13, 3, v0
	s_delay_alu instid0(VALU_DEP_1)
	v_and_b32_e32 v13, 0x7c, v13
	ds_store_b32 v13, v12
.LBB2_22:
	s_or_b32 exec_lo, exec_lo, s2
	s_delay_alu instid0(SALU_CYCLE_1)
	s_mov_b32 s2, exec_lo
	s_waitcnt lgkmcnt(0)
	s_barrier
	buffer_gl0_inv
	v_cmpx_gt_u32_e32 32, v0
	s_cbranch_execz .LBB2_24
; %bb.23:
	v_lshlrev_b32_e32 v1, 2, v1
	s_add_i32 s4, s12, 31
	s_delay_alu instid0(SALU_CYCLE_1) | instskip(NEXT) | instid1(SALU_CYCLE_1)
	s_lshr_b32 s4, s4, 5
	v_cmp_gt_u32_e32 vcc_lo, s4, v3
	ds_load_b32 v1, v1
	s_waitcnt lgkmcnt(0)
	ds_bpermute_b32 v2, v2, v1
	s_waitcnt lgkmcnt(0)
	v_add_f32_e32 v2, v1, v2
	s_delay_alu instid0(VALU_DEP_1) | instskip(SKIP_4) | instid1(VALU_DEP_1)
	v_cndmask_b32_e32 v1, v1, v2, vcc_lo
	v_cmp_gt_u32_e32 vcc_lo, s4, v4
	ds_bpermute_b32 v2, v5, v1
	s_waitcnt lgkmcnt(0)
	v_add_f32_e32 v2, v1, v2
	v_cndmask_b32_e32 v1, v1, v2, vcc_lo
	v_cmp_gt_u32_e32 vcc_lo, s4, v7
	ds_bpermute_b32 v2, v6, v1
	s_waitcnt lgkmcnt(0)
	v_add_f32_e32 v2, v1, v2
	s_delay_alu instid0(VALU_DEP_1) | instskip(SKIP_4) | instid1(VALU_DEP_1)
	v_cndmask_b32_e32 v1, v1, v2, vcc_lo
	v_cmp_gt_u32_e32 vcc_lo, s4, v9
	ds_bpermute_b32 v2, v8, v1
	s_waitcnt lgkmcnt(0)
	v_add_f32_e32 v2, v1, v2
	v_cndmask_b32_e32 v1, v1, v2, vcc_lo
	v_cmp_gt_u32_e32 vcc_lo, s4, v11
	ds_bpermute_b32 v2, v10, v1
	s_waitcnt lgkmcnt(0)
	v_add_f32_e32 v2, v1, v2
	s_delay_alu instid0(VALU_DEP_1)
	v_cndmask_b32_e32 v12, v1, v2, vcc_lo
.LBB2_24:
	s_or_b32 exec_lo, exec_lo, s2
	s_delay_alu instid0(SALU_CYCLE_1)
	s_mov_b32 s2, exec_lo
	v_cmpx_eq_u32_e32 0, v0
	s_cbranch_execz .LBB2_26
; %bb.25:
	v_cvt_f32_i32_e32 v1, s3
	s_load_b32 s4, s[0:1], 0x40
	s_delay_alu instid0(VALU_DEP_1) | instskip(SKIP_1) | instid1(VALU_DEP_2)
	v_div_scale_f32 v2, null, v1, v1, v12
	v_div_scale_f32 v5, vcc_lo, v12, v1, v12
	v_rcp_f32_e32 v3, v2
	s_waitcnt_depctr 0xfff
	v_fma_f32 v4, -v2, v3, 1.0
	s_delay_alu instid0(VALU_DEP_1) | instskip(NEXT) | instid1(VALU_DEP_1)
	v_fmac_f32_e32 v3, v4, v3
	v_mul_f32_e32 v4, v5, v3
	s_delay_alu instid0(VALU_DEP_1) | instskip(NEXT) | instid1(VALU_DEP_1)
	v_fma_f32 v6, -v2, v4, v5
	v_fmac_f32_e32 v4, v6, v3
	s_delay_alu instid0(VALU_DEP_1) | instskip(NEXT) | instid1(VALU_DEP_1)
	v_fma_f32 v2, -v2, v4, v5
	v_div_fmas_f32 v2, v2, v3, v4
	s_delay_alu instid0(VALU_DEP_1) | instskip(SKIP_1) | instid1(VALU_DEP_1)
	v_div_fixup_f32 v1, v2, v1, v12
	s_waitcnt lgkmcnt(0)
	v_add_f32_e32 v1, s4, v1
	s_delay_alu instid0(VALU_DEP_1) | instskip(SKIP_1) | instid1(VALU_DEP_2)
	v_mul_f32_e32 v2, 0x4b800000, v1
	v_cmp_gt_f32_e32 vcc_lo, 0x800000, v1
	v_cndmask_b32_e32 v1, v1, v2, vcc_lo
	s_delay_alu instid0(VALU_DEP_1) | instskip(SKIP_2) | instid1(VALU_DEP_1)
	v_rsq_f32_e32 v1, v1
	s_waitcnt_depctr 0xfff
	v_mul_f32_e32 v2, 0x45800000, v1
	v_dual_cndmask_b32 v1, v1, v2 :: v_dual_mov_b32 v2, 0
	ds_store_b32 v2, v1 offset:128
.LBB2_26:
	s_or_b32 exec_lo, exec_lo, s2
	s_ashr_i32 s2, s3, 31
	s_waitcnt lgkmcnt(0)
	s_lshr_b32 s2, s2, 30
	s_barrier
	s_add_i32 s2, s3, s2
	buffer_gl0_inv
	s_ashr_i32 s4, s2, 2
	s_mov_b32 s2, exec_lo
	v_cmpx_gt_i32_e64 s4, v0
	s_cbranch_execz .LBB2_29
; %bb.27:
	v_dual_mov_b32 v1, 0 :: v_dual_lshlrev_b32 v2, 4, v0
	s_clause 0x1
	s_load_b64 s[6:7], s[0:1], 0x0
	s_load_b64 s[0:1], s[0:1], 0x38
	s_mul_i32 s2, s15, s3
	s_mov_b32 s3, 0
	ds_load_b32 v1, v1 offset:128
	s_lshl_b64 s[8:9], s[2:3], 2
	s_waitcnt lgkmcnt(0)
	s_add_u32 s2, s6, s8
	s_addc_u32 s5, s7, s9
	s_lshl_b32 s6, s12, 4
	s_set_inst_prefetch_distance 0x1
	.p2align	6
.LBB2_28:                               ; =>This Inner Loop Header: Depth=1
	v_add_co_u32 v3, s7, s10, v2
	s_delay_alu instid0(VALU_DEP_1) | instskip(SKIP_1) | instid1(VALU_DEP_1)
	v_add_co_ci_u32_e64 v4, null, s11, 0, s7
	v_add_co_u32 v7, s7, s0, v2
	v_add_co_ci_u32_e64 v8, null, s1, 0, s7
	global_load_b128 v[3:6], v[3:4], off
	global_load_b128 v[7:10], v[7:8], off
	v_add_nc_u32_e32 v0, s12, v0
	v_add_co_u32 v11, s7, s2, v2
	s_add_u32 s2, s2, s6
	v_add_co_ci_u32_e64 v12, null, s5, 0, s7
	s_addc_u32 s5, s5, 0
	s_add_u32 s10, s10, s6
	s_addc_u32 s11, s11, 0
	s_add_u32 s0, s0, s6
	s_addc_u32 s1, s1, 0
	s_waitcnt vmcnt(1)
	v_mul_f32_e32 v3, v3, v1
	v_mul_f32_e32 v4, v4, v1
	v_mul_f32_e32 v6, v6, v1
	v_cmp_le_i32_e32 vcc_lo, s4, v0
	s_waitcnt vmcnt(0)
	v_mul_f32_e32 v3, v3, v7
	v_dual_mul_f32 v5, v5, v1 :: v_dual_mul_f32 v4, v4, v8
	v_mul_f32_e32 v6, v6, v10
	s_or_b32 s3, vcc_lo, s3
	s_delay_alu instid0(VALU_DEP_2)
	v_mul_f32_e32 v5, v5, v9
	global_store_b128 v[11:12], v[3:6], off
	s_and_not1_b32 exec_lo, exec_lo, s3
	s_cbranch_execnz .LBB2_28
.LBB2_29:
	s_set_inst_prefetch_distance 0x2
	s_nop 0
	s_sendmsg sendmsg(MSG_DEALLOC_VGPRS)
	s_endpgm
	.section	.rodata,"a",@progbits
	.p2align	6, 0x0
	.amdhsa_kernel _ZN4vllm15rms_norm_kernelIfLi4ELi2EEEvPT_PKS1_lllllS4_fii
		.amdhsa_group_segment_fixed_size 132
		.amdhsa_private_segment_fixed_size 0
		.amdhsa_kernarg_size 336
		.amdhsa_user_sgpr_count 15
		.amdhsa_user_sgpr_dispatch_ptr 0
		.amdhsa_user_sgpr_queue_ptr 0
		.amdhsa_user_sgpr_kernarg_segment_ptr 1
		.amdhsa_user_sgpr_dispatch_id 0
		.amdhsa_user_sgpr_private_segment_size 0
		.amdhsa_wavefront_size32 1
		.amdhsa_uses_dynamic_stack 0
		.amdhsa_enable_private_segment 0
		.amdhsa_system_sgpr_workgroup_id_x 1
		.amdhsa_system_sgpr_workgroup_id_y 0
		.amdhsa_system_sgpr_workgroup_id_z 0
		.amdhsa_system_sgpr_workgroup_info 0
		.amdhsa_system_vgpr_workitem_id 0
		.amdhsa_next_free_vgpr 15
		.amdhsa_next_free_sgpr 20
		.amdhsa_reserve_vcc 1
		.amdhsa_float_round_mode_32 0
		.amdhsa_float_round_mode_16_64 0
		.amdhsa_float_denorm_mode_32 3
		.amdhsa_float_denorm_mode_16_64 3
		.amdhsa_dx10_clamp 1
		.amdhsa_ieee_mode 1
		.amdhsa_fp16_overflow 0
		.amdhsa_workgroup_processor_mode 1
		.amdhsa_memory_ordered 1
		.amdhsa_forward_progress 0
		.amdhsa_shared_vgpr_count 0
		.amdhsa_exception_fp_ieee_invalid_op 0
		.amdhsa_exception_fp_denorm_src 0
		.amdhsa_exception_fp_ieee_div_zero 0
		.amdhsa_exception_fp_ieee_overflow 0
		.amdhsa_exception_fp_ieee_underflow 0
		.amdhsa_exception_fp_ieee_inexact 0
		.amdhsa_exception_int_div_zero 0
	.end_amdhsa_kernel
	.section	.text._ZN4vllm15rms_norm_kernelIfLi4ELi2EEEvPT_PKS1_lllllS4_fii,"axG",@progbits,_ZN4vllm15rms_norm_kernelIfLi4ELi2EEEvPT_PKS1_lllllS4_fii,comdat
.Lfunc_end2:
	.size	_ZN4vllm15rms_norm_kernelIfLi4ELi2EEEvPT_PKS1_lllllS4_fii, .Lfunc_end2-_ZN4vllm15rms_norm_kernelIfLi4ELi2EEEvPT_PKS1_lllllS4_fii
                                        ; -- End function
	.section	.AMDGPU.csdata,"",@progbits
; Kernel info:
; codeLenInByte = 1856
; NumSgprs: 22
; NumVgprs: 15
; ScratchSize: 0
; MemoryBound: 0
; FloatMode: 240
; IeeeMode: 1
; LDSByteSize: 132 bytes/workgroup (compile time only)
; SGPRBlocks: 2
; VGPRBlocks: 1
; NumSGPRsForWavesPerEU: 22
; NumVGPRsForWavesPerEU: 15
; Occupancy: 16
; WaveLimiterHint : 0
; COMPUTE_PGM_RSRC2:SCRATCH_EN: 0
; COMPUTE_PGM_RSRC2:USER_SGPR: 15
; COMPUTE_PGM_RSRC2:TRAP_HANDLER: 0
; COMPUTE_PGM_RSRC2:TGID_X_EN: 1
; COMPUTE_PGM_RSRC2:TGID_Y_EN: 0
; COMPUTE_PGM_RSRC2:TGID_Z_EN: 0
; COMPUTE_PGM_RSRC2:TIDIG_COMP_CNT: 0
	.section	.text._ZN4vllm15rms_norm_kernelIfLi2ELi2EEEvPT_PKS1_lllllS4_fii,"axG",@progbits,_ZN4vllm15rms_norm_kernelIfLi2ELi2EEEvPT_PKS1_lllllS4_fii,comdat
	.protected	_ZN4vllm15rms_norm_kernelIfLi2ELi2EEEvPT_PKS1_lllllS4_fii ; -- Begin function _ZN4vllm15rms_norm_kernelIfLi2ELi2EEEvPT_PKS1_lllllS4_fii
	.globl	_ZN4vllm15rms_norm_kernelIfLi2ELi2EEEvPT_PKS1_lllllS4_fii
	.p2align	8
	.type	_ZN4vllm15rms_norm_kernelIfLi2ELi2EEEvPT_PKS1_lllllS4_fii,@function
_ZN4vllm15rms_norm_kernelIfLi2ELi2EEEvPT_PKS1_lllllS4_fii: ; @_ZN4vllm15rms_norm_kernelIfLi2ELi2EEEvPT_PKS1_lllllS4_fii
; %bb.0:
	s_clause 0x2
	s_load_b128 s[4:7], s[0:1], 0x8
	s_load_b32 s10, s[0:1], 0x5c
	s_load_b32 s11, s[0:1], 0x48
	s_mov_b32 s9, 0
	s_waitcnt lgkmcnt(0)
	s_mul_i32 s3, s15, s7
	s_mul_hi_u32 s7, s15, s6
	s_mul_i32 s2, s15, s6
	s_add_i32 s3, s7, s3
	s_delay_alu instid0(SALU_CYCLE_1) | instskip(NEXT) | instid1(SALU_CYCLE_1)
	s_lshl_b64 s[6:7], s[2:3], 2
	s_add_u32 s2, s4, s6
	s_addc_u32 s3, s5, s7
	s_and_b32 s8, s2, 7
	s_and_b32 s10, s10, 0xffff
	s_cmp_lg_u64 s[8:9], 0
	s_cselect_b32 s8, -1, 0
	s_bitcmp1_b32 s11, 0
	s_cselect_b32 s9, -1, 0
	s_delay_alu instid0(SALU_CYCLE_1) | instskip(NEXT) | instid1(SALU_CYCLE_1)
	s_or_b32 s8, s8, s9
	s_and_b32 vcc_lo, exec_lo, s8
	s_cbranch_vccz .LBB3_13
; %bb.1:
	s_sub_i32 s8, 0, s2
	v_mov_b32_e32 v4, 0
	s_bfe_u32 s8, s8, 0x10002
	s_mov_b32 s9, exec_lo
	s_min_i32 s8, s8, s11
	s_delay_alu instid0(SALU_CYCLE_1)
	v_cmpx_gt_i32_e64 s8, v0
	s_cbranch_execz .LBB3_4
; %bb.2:
	v_mov_b32_e32 v4, 0
	s_lshl_b32 s12, s10, 2
	s_mov_b32 s13, 0
.LBB3_3:                                ; =>This Inner Loop Header: Depth=1
	s_load_b32 s14, s[2:3], 0x0
	s_add_i32 s13, s13, s10
	s_add_u32 s2, s2, s12
	s_addc_u32 s3, s3, 0
	s_cmp_ge_i32 s13, s8
	s_waitcnt lgkmcnt(0)
	v_fmac_f32_e64 v4, s14, s14
	s_cbranch_scc0 .LBB3_3
.LBB3_4:
	s_or_b32 exec_lo, exec_lo, s9
	s_sub_i32 s3, s11, s8
	s_ashr_i32 s9, s8, 31
	s_lshr_b32 s2, s3, 31
	s_mov_b32 s13, exec_lo
	s_add_i32 s2, s3, s2
	s_delay_alu instid0(SALU_CYCLE_1) | instskip(NEXT) | instid1(SALU_CYCLE_1)
	s_ashr_i32 s12, s2, 1
	v_cmpx_gt_i32_e64 s12, v0
	s_cbranch_execz .LBB3_8
; %bb.5:
	s_lshl_b64 s[16:17], s[8:9], 2
	v_lshlrev_b32_e32 v1, 3, v0
	s_add_u32 s2, s4, s16
	s_addc_u32 s14, s5, s17
	s_add_u32 s2, s2, s6
	s_addc_u32 s14, s14, s7
	v_add_co_u32 v1, s2, s2, v1
	s_delay_alu instid0(VALU_DEP_1) | instskip(SKIP_1) | instid1(VALU_DEP_3)
	v_add_co_ci_u32_e64 v2, null, s14, 0, s2
	v_mov_b32_e32 v3, v0
	v_add_co_u32 v1, vcc_lo, v1, 4
	s_delay_alu instid0(VALU_DEP_3)
	v_add_co_ci_u32_e32 v2, vcc_lo, 0, v2, vcc_lo
	s_mov_b32 s14, 0
	s_lshl_b32 s16, s10, 3
.LBB3_6:                                ; =>This Inner Loop Header: Depth=1
	global_load_b64 v[5:6], v[1:2], off offset:-4
	v_add_nc_u32_e32 v3, s10, v3
	v_add_co_u32 v1, vcc_lo, v1, s16
	v_add_co_ci_u32_e32 v2, vcc_lo, 0, v2, vcc_lo
	s_waitcnt vmcnt(0)
	v_fmac_f32_e32 v4, v5, v5
	v_cmp_le_i32_e64 s2, s12, v3
	s_delay_alu instid0(VALU_DEP_2) | instskip(NEXT) | instid1(VALU_DEP_2)
	v_fmac_f32_e32 v4, v6, v6
	s_or_b32 s14, s2, s14
	s_delay_alu instid0(SALU_CYCLE_1)
	s_and_not1_b32 exec_lo, exec_lo, s14
	s_cbranch_execnz .LBB3_6
; %bb.7:
	s_or_b32 exec_lo, exec_lo, s14
.LBB3_8:
	s_delay_alu instid0(SALU_CYCLE_1) | instskip(SKIP_2) | instid1(VALU_DEP_1)
	s_or_b32 exec_lo, exec_lo, s13
	v_lshl_add_u32 v1, s12, 1, v0
	s_mov_b32 s12, exec_lo
	v_cmpx_gt_i32_e64 s3, v1
	s_cbranch_execz .LBB3_12
; %bb.9:
	v_ashrrev_i32_e32 v2, 31, v1
	s_lshl_b64 s[8:9], s[8:9], 2
	s_delay_alu instid0(SALU_CYCLE_1) | instskip(SKIP_1) | instid1(VALU_DEP_1)
	s_add_u32 s2, s6, s8
	s_addc_u32 s8, s7, s9
	v_lshlrev_b64 v[2:3], 2, v[1:2]
	s_add_u32 s2, s4, s2
	s_addc_u32 s8, s5, s8
	s_lshl_b32 s9, s10, 2
	s_delay_alu instid0(VALU_DEP_1) | instskip(NEXT) | instid1(VALU_DEP_2)
	v_add_co_u32 v2, vcc_lo, s2, v2
	v_add_co_ci_u32_e32 v3, vcc_lo, s8, v3, vcc_lo
	s_mov_b32 s8, 0
.LBB3_10:                               ; =>This Inner Loop Header: Depth=1
	global_load_b32 v5, v[2:3], off
	v_add_nc_u32_e32 v1, s10, v1
	v_add_co_u32 v2, vcc_lo, v2, s9
	v_add_co_ci_u32_e32 v3, vcc_lo, 0, v3, vcc_lo
	s_delay_alu instid0(VALU_DEP_3) | instskip(NEXT) | instid1(VALU_DEP_1)
	v_cmp_le_i32_e64 s2, s3, v1
	s_or_b32 s8, s2, s8
	s_waitcnt vmcnt(0)
	v_fmac_f32_e32 v4, v5, v5
	s_and_not1_b32 exec_lo, exec_lo, s8
	s_cbranch_execnz .LBB3_10
; %bb.11:
	s_or_b32 exec_lo, exec_lo, s8
.LBB3_12:
	s_delay_alu instid0(SALU_CYCLE_1)
	s_or_b32 exec_lo, exec_lo, s12
	s_branch .LBB3_19
.LBB3_13:
                                        ; implicit-def: $vgpr4
	s_cbranch_execz .LBB3_19
; %bb.14:
	v_mov_b32_e32 v4, 0
	s_ashr_i32 s8, s11, 1
	s_mov_b32 s3, exec_lo
	v_cmpx_gt_i32_e64 s8, v0
	s_cbranch_execz .LBB3_18
; %bb.15:
	v_dual_mov_b32 v4, 0 :: v_dual_lshlrev_b32 v1, 3, v0
	s_add_u32 s2, s4, s6
	s_addc_u32 s9, s5, s7
	v_mov_b32_e32 v3, v0
	s_delay_alu instid0(VALU_DEP_2) | instskip(NEXT) | instid1(VALU_DEP_1)
	v_add_co_u32 v1, s2, s2, v1
	v_add_co_ci_u32_e64 v2, null, s9, 0, s2
	s_mov_b32 s9, 0
	s_delay_alu instid0(VALU_DEP_2) | instskip(NEXT) | instid1(VALU_DEP_2)
	v_add_co_u32 v1, vcc_lo, v1, 4
	v_add_co_ci_u32_e32 v2, vcc_lo, 0, v2, vcc_lo
	s_lshl_b32 s12, s10, 3
.LBB3_16:                               ; =>This Inner Loop Header: Depth=1
	global_load_b64 v[5:6], v[1:2], off offset:-4
	v_add_nc_u32_e32 v3, s10, v3
	v_add_co_u32 v1, vcc_lo, v1, s12
	v_add_co_ci_u32_e32 v2, vcc_lo, 0, v2, vcc_lo
	s_waitcnt vmcnt(0)
	v_fmac_f32_e32 v4, v5, v5
	v_cmp_le_i32_e64 s2, s8, v3
	s_delay_alu instid0(VALU_DEP_2) | instskip(NEXT) | instid1(VALU_DEP_2)
	v_fmac_f32_e32 v4, v6, v6
	s_or_b32 s9, s2, s9
	s_delay_alu instid0(SALU_CYCLE_1)
	s_and_not1_b32 exec_lo, exec_lo, s9
	s_cbranch_execnz .LBB3_16
; %bb.17:
	s_or_b32 exec_lo, exec_lo, s9
.LBB3_18:
	s_delay_alu instid0(SALU_CYCLE_1)
	s_or_b32 exec_lo, exec_lo, s3
.LBB3_19:
	v_mbcnt_lo_u32_b32 v1, -1, 0
	v_and_b32_e32 v3, 0x3e0, v0
	s_mov_b32 s2, exec_lo
	s_delay_alu instid0(VALU_DEP_2) | instskip(NEXT) | instid1(VALU_DEP_2)
	v_cmp_ne_u32_e32 vcc_lo, 31, v1
	v_sub_nc_u32_e64 v12, s10, v3 clamp
	v_add_nc_u32_e32 v3, 1, v1
	v_add_co_ci_u32_e32 v2, vcc_lo, 0, v1, vcc_lo
	v_cmp_gt_u32_e32 vcc_lo, 30, v1
	s_delay_alu instid0(VALU_DEP_2)
	v_lshlrev_b32_e32 v2, 2, v2
	v_cndmask_b32_e64 v6, 0, 1, vcc_lo
	v_cmp_lt_u32_e32 vcc_lo, v3, v12
	ds_bpermute_b32 v5, v2, v4
	s_waitcnt lgkmcnt(0)
	v_dual_add_f32 v7, v4, v5 :: v_dual_lshlrev_b32 v6, 1, v6
	s_delay_alu instid0(VALU_DEP_1) | instskip(NEXT) | instid1(VALU_DEP_2)
	v_cndmask_b32_e32 v7, v4, v7, vcc_lo
	v_add_lshl_u32 v5, v6, v1, 2
	v_cmp_gt_u32_e32 vcc_lo, 28, v1
	ds_bpermute_b32 v6, v5, v7
	v_cndmask_b32_e64 v4, 0, 1, vcc_lo
	s_delay_alu instid0(VALU_DEP_1) | instskip(SKIP_1) | instid1(VALU_DEP_1)
	v_lshlrev_b32_e32 v8, 2, v4
	v_add_nc_u32_e32 v4, 2, v1
	v_cmp_lt_u32_e32 vcc_lo, v4, v12
	s_waitcnt lgkmcnt(0)
	v_add_f32_e32 v9, v7, v6
	v_add_lshl_u32 v6, v8, v1, 2
	s_delay_alu instid0(VALU_DEP_2) | instskip(SKIP_2) | instid1(VALU_DEP_1)
	v_cndmask_b32_e32 v9, v7, v9, vcc_lo
	v_cmp_gt_u32_e32 vcc_lo, 24, v1
	v_cndmask_b32_e64 v7, 0, 1, vcc_lo
	v_lshlrev_b32_e32 v10, 3, v7
	ds_bpermute_b32 v8, v6, v9
	v_add_nc_u32_e32 v7, 4, v1
	s_delay_alu instid0(VALU_DEP_1) | instskip(SKIP_3) | instid1(VALU_DEP_2)
	v_cmp_lt_u32_e32 vcc_lo, v7, v12
	s_waitcnt lgkmcnt(0)
	v_add_f32_e32 v11, v9, v8
	v_add_lshl_u32 v8, v10, v1, 2
	v_cndmask_b32_e32 v11, v9, v11, vcc_lo
	v_cmp_gt_u32_e32 vcc_lo, 16, v1
	ds_bpermute_b32 v10, v8, v11
	v_cndmask_b32_e64 v9, 0, 1, vcc_lo
	s_delay_alu instid0(VALU_DEP_1) | instskip(SKIP_1) | instid1(VALU_DEP_1)
	v_lshlrev_b32_e32 v13, 4, v9
	v_add_nc_u32_e32 v9, 8, v1
	v_cmp_lt_u32_e32 vcc_lo, v9, v12
	s_waitcnt lgkmcnt(0)
	v_add_f32_e32 v14, v11, v10
	v_add_lshl_u32 v10, v13, v1, 2
	s_delay_alu instid0(VALU_DEP_2)
	v_cndmask_b32_e32 v13, v11, v14, vcc_lo
	v_add_nc_u32_e32 v11, 16, v1
	ds_bpermute_b32 v14, v10, v13
	v_cmp_lt_u32_e32 vcc_lo, v11, v12
	s_waitcnt lgkmcnt(0)
	v_add_f32_e32 v14, v13, v14
	s_delay_alu instid0(VALU_DEP_1)
	v_cndmask_b32_e32 v12, v13, v14, vcc_lo
	v_cmpx_eq_u32_e32 0, v1
	s_cbranch_execz .LBB3_21
; %bb.20:
	v_lshrrev_b32_e32 v13, 3, v0
	s_delay_alu instid0(VALU_DEP_1)
	v_and_b32_e32 v13, 0x7c, v13
	ds_store_b32 v13, v12
.LBB3_21:
	s_or_b32 exec_lo, exec_lo, s2
	s_delay_alu instid0(SALU_CYCLE_1)
	s_mov_b32 s2, exec_lo
	s_waitcnt lgkmcnt(0)
	s_barrier
	buffer_gl0_inv
	v_cmpx_gt_u32_e32 32, v0
	s_cbranch_execz .LBB3_23
; %bb.22:
	v_lshlrev_b32_e32 v1, 2, v1
	s_add_i32 s3, s10, 31
	s_delay_alu instid0(SALU_CYCLE_1) | instskip(NEXT) | instid1(SALU_CYCLE_1)
	s_lshr_b32 s3, s3, 5
	v_cmp_gt_u32_e32 vcc_lo, s3, v3
	ds_load_b32 v1, v1
	s_waitcnt lgkmcnt(0)
	ds_bpermute_b32 v2, v2, v1
	s_waitcnt lgkmcnt(0)
	v_add_f32_e32 v2, v1, v2
	s_delay_alu instid0(VALU_DEP_1) | instskip(SKIP_4) | instid1(VALU_DEP_1)
	v_cndmask_b32_e32 v1, v1, v2, vcc_lo
	v_cmp_gt_u32_e32 vcc_lo, s3, v4
	ds_bpermute_b32 v2, v5, v1
	s_waitcnt lgkmcnt(0)
	v_add_f32_e32 v2, v1, v2
	v_cndmask_b32_e32 v1, v1, v2, vcc_lo
	v_cmp_gt_u32_e32 vcc_lo, s3, v7
	ds_bpermute_b32 v2, v6, v1
	s_waitcnt lgkmcnt(0)
	v_add_f32_e32 v2, v1, v2
	s_delay_alu instid0(VALU_DEP_1) | instskip(SKIP_4) | instid1(VALU_DEP_1)
	v_cndmask_b32_e32 v1, v1, v2, vcc_lo
	v_cmp_gt_u32_e32 vcc_lo, s3, v9
	ds_bpermute_b32 v2, v8, v1
	s_waitcnt lgkmcnt(0)
	v_add_f32_e32 v2, v1, v2
	v_cndmask_b32_e32 v1, v1, v2, vcc_lo
	v_cmp_gt_u32_e32 vcc_lo, s3, v11
	ds_bpermute_b32 v2, v10, v1
	s_waitcnt lgkmcnt(0)
	v_add_f32_e32 v2, v1, v2
	s_delay_alu instid0(VALU_DEP_1)
	v_cndmask_b32_e32 v12, v1, v2, vcc_lo
.LBB3_23:
	s_or_b32 exec_lo, exec_lo, s2
	s_delay_alu instid0(SALU_CYCLE_1)
	s_mov_b32 s2, exec_lo
	v_cmpx_eq_u32_e32 0, v0
	s_cbranch_execz .LBB3_25
; %bb.24:
	v_cvt_f32_i32_e32 v1, s11
	s_load_b32 s3, s[0:1], 0x40
	s_delay_alu instid0(VALU_DEP_1) | instskip(SKIP_1) | instid1(VALU_DEP_2)
	v_div_scale_f32 v2, null, v1, v1, v12
	v_div_scale_f32 v5, vcc_lo, v12, v1, v12
	v_rcp_f32_e32 v3, v2
	s_waitcnt_depctr 0xfff
	v_fma_f32 v4, -v2, v3, 1.0
	s_delay_alu instid0(VALU_DEP_1) | instskip(NEXT) | instid1(VALU_DEP_1)
	v_fmac_f32_e32 v3, v4, v3
	v_mul_f32_e32 v4, v5, v3
	s_delay_alu instid0(VALU_DEP_1) | instskip(NEXT) | instid1(VALU_DEP_1)
	v_fma_f32 v6, -v2, v4, v5
	v_fmac_f32_e32 v4, v6, v3
	s_delay_alu instid0(VALU_DEP_1) | instskip(NEXT) | instid1(VALU_DEP_1)
	v_fma_f32 v2, -v2, v4, v5
	v_div_fmas_f32 v2, v2, v3, v4
	s_delay_alu instid0(VALU_DEP_1) | instskip(SKIP_1) | instid1(VALU_DEP_1)
	v_div_fixup_f32 v1, v2, v1, v12
	s_waitcnt lgkmcnt(0)
	v_add_f32_e32 v1, s3, v1
	s_delay_alu instid0(VALU_DEP_1) | instskip(SKIP_1) | instid1(VALU_DEP_2)
	v_mul_f32_e32 v2, 0x4b800000, v1
	v_cmp_gt_f32_e32 vcc_lo, 0x800000, v1
	v_cndmask_b32_e32 v1, v1, v2, vcc_lo
	s_delay_alu instid0(VALU_DEP_1) | instskip(SKIP_2) | instid1(VALU_DEP_1)
	v_rsq_f32_e32 v1, v1
	s_waitcnt_depctr 0xfff
	v_mul_f32_e32 v2, 0x45800000, v1
	v_dual_cndmask_b32 v1, v1, v2 :: v_dual_mov_b32 v2, 0
	ds_store_b32 v2, v1 offset:128
.LBB3_25:
	s_or_b32 exec_lo, exec_lo, s2
	s_lshr_b32 s2, s11, 31
	s_waitcnt lgkmcnt(0)
	s_add_i32 s2, s11, s2
	s_barrier
	s_ashr_i32 s2, s2, 1
	buffer_gl0_inv
	s_mov_b32 s3, exec_lo
	v_cmpx_gt_i32_e64 s2, v0
	s_cbranch_execz .LBB3_28
; %bb.26:
	s_clause 0x1
	s_load_b64 s[8:9], s[0:1], 0x0
	s_load_b64 s[12:13], s[0:1], 0x38
	v_mov_b32_e32 v1, 0
	s_mul_i32 s0, s15, s11
	s_mov_b32 s1, 0
	v_lshlrev_b32_e32 v3, 3, v0
	s_lshl_b64 s[14:15], s[0:1], 2
	ds_load_b32 v2, v1 offset:128
	s_waitcnt lgkmcnt(0)
	s_add_u32 s3, s8, s14
	s_addc_u32 s8, s9, s15
	s_lshl_b32 s9, s10, 3
	s_add_u32 s0, s4, s6
	s_addc_u32 s5, s5, s7
	s_add_u32 s4, s0, 4
	s_addc_u32 s5, s5, 0
	;; [unrolled: 2-line block ×3, first 2 shown]
	.p2align	6
.LBB3_27:                               ; =>This Inner Loop Header: Depth=1
	v_add_co_u32 v4, vcc_lo, s4, v3
	v_add_co_ci_u32_e32 v5, vcc_lo, s5, v1, vcc_lo
	v_add_co_u32 v6, vcc_lo, s6, v3
	v_add_co_ci_u32_e32 v7, vcc_lo, s7, v1, vcc_lo
	v_add_co_u32 v8, vcc_lo, s3, v3
	global_load_b64 v[4:5], v[4:5], off offset:-4
	global_load_b64 v[6:7], v[6:7], off offset:-4
	v_add_nc_u32_e32 v0, s10, v0
	v_add_co_ci_u32_e32 v9, vcc_lo, s8, v1, vcc_lo
	v_add_co_u32 v3, vcc_lo, v3, s9
	v_add_co_ci_u32_e32 v1, vcc_lo, 0, v1, vcc_lo
	s_waitcnt vmcnt(1)
	v_mul_f32_e32 v5, v5, v2
	v_mul_f32_e32 v4, v4, v2
	v_cmp_le_i32_e64 s0, s2, v0
	s_waitcnt vmcnt(0)
	s_delay_alu instid0(VALU_DEP_2) | instskip(NEXT) | instid1(VALU_DEP_2)
	v_dual_mul_f32 v5, v5, v7 :: v_dual_mul_f32 v4, v4, v6
	s_or_b32 s1, s0, s1
	global_store_b64 v[8:9], v[4:5], off
	s_and_not1_b32 exec_lo, exec_lo, s1
	s_cbranch_execnz .LBB3_27
.LBB3_28:
	s_nop 0
	s_sendmsg sendmsg(MSG_DEALLOC_VGPRS)
	s_endpgm
	.section	.rodata,"a",@progbits
	.p2align	6, 0x0
	.amdhsa_kernel _ZN4vllm15rms_norm_kernelIfLi2ELi2EEEvPT_PKS1_lllllS4_fii
		.amdhsa_group_segment_fixed_size 132
		.amdhsa_private_segment_fixed_size 0
		.amdhsa_kernarg_size 336
		.amdhsa_user_sgpr_count 15
		.amdhsa_user_sgpr_dispatch_ptr 0
		.amdhsa_user_sgpr_queue_ptr 0
		.amdhsa_user_sgpr_kernarg_segment_ptr 1
		.amdhsa_user_sgpr_dispatch_id 0
		.amdhsa_user_sgpr_private_segment_size 0
		.amdhsa_wavefront_size32 1
		.amdhsa_uses_dynamic_stack 0
		.amdhsa_enable_private_segment 0
		.amdhsa_system_sgpr_workgroup_id_x 1
		.amdhsa_system_sgpr_workgroup_id_y 0
		.amdhsa_system_sgpr_workgroup_id_z 0
		.amdhsa_system_sgpr_workgroup_info 0
		.amdhsa_system_vgpr_workitem_id 0
		.amdhsa_next_free_vgpr 15
		.amdhsa_next_free_sgpr 18
		.amdhsa_reserve_vcc 1
		.amdhsa_float_round_mode_32 0
		.amdhsa_float_round_mode_16_64 0
		.amdhsa_float_denorm_mode_32 3
		.amdhsa_float_denorm_mode_16_64 3
		.amdhsa_dx10_clamp 1
		.amdhsa_ieee_mode 1
		.amdhsa_fp16_overflow 0
		.amdhsa_workgroup_processor_mode 1
		.amdhsa_memory_ordered 1
		.amdhsa_forward_progress 0
		.amdhsa_shared_vgpr_count 0
		.amdhsa_exception_fp_ieee_invalid_op 0
		.amdhsa_exception_fp_denorm_src 0
		.amdhsa_exception_fp_ieee_div_zero 0
		.amdhsa_exception_fp_ieee_overflow 0
		.amdhsa_exception_fp_ieee_underflow 0
		.amdhsa_exception_fp_ieee_inexact 0
		.amdhsa_exception_int_div_zero 0
	.end_amdhsa_kernel
	.section	.text._ZN4vllm15rms_norm_kernelIfLi2ELi2EEEvPT_PKS1_lllllS4_fii,"axG",@progbits,_ZN4vllm15rms_norm_kernelIfLi2ELi2EEEvPT_PKS1_lllllS4_fii,comdat
.Lfunc_end3:
	.size	_ZN4vllm15rms_norm_kernelIfLi2ELi2EEEvPT_PKS1_lllllS4_fii, .Lfunc_end3-_ZN4vllm15rms_norm_kernelIfLi2ELi2EEEvPT_PKS1_lllllS4_fii
                                        ; -- End function
	.section	.AMDGPU.csdata,"",@progbits
; Kernel info:
; codeLenInByte = 1728
; NumSgprs: 20
; NumVgprs: 15
; ScratchSize: 0
; MemoryBound: 0
; FloatMode: 240
; IeeeMode: 1
; LDSByteSize: 132 bytes/workgroup (compile time only)
; SGPRBlocks: 2
; VGPRBlocks: 1
; NumSGPRsForWavesPerEU: 20
; NumVGPRsForWavesPerEU: 15
; Occupancy: 16
; WaveLimiterHint : 0
; COMPUTE_PGM_RSRC2:SCRATCH_EN: 0
; COMPUTE_PGM_RSRC2:USER_SGPR: 15
; COMPUTE_PGM_RSRC2:TRAP_HANDLER: 0
; COMPUTE_PGM_RSRC2:TGID_X_EN: 1
; COMPUTE_PGM_RSRC2:TGID_Y_EN: 0
; COMPUTE_PGM_RSRC2:TGID_Z_EN: 0
; COMPUTE_PGM_RSRC2:TIDIG_COMP_CNT: 0
	.section	.text._ZN4vllm15rms_norm_kernelIfLi1ELi2EEEvPT_PKS1_lllllS4_fii,"axG",@progbits,_ZN4vllm15rms_norm_kernelIfLi1ELi2EEEvPT_PKS1_lllllS4_fii,comdat
	.protected	_ZN4vllm15rms_norm_kernelIfLi1ELi2EEEvPT_PKS1_lllllS4_fii ; -- Begin function _ZN4vllm15rms_norm_kernelIfLi1ELi2EEEvPT_PKS1_lllllS4_fii
	.globl	_ZN4vllm15rms_norm_kernelIfLi1ELi2EEEvPT_PKS1_lllllS4_fii
	.p2align	8
	.type	_ZN4vllm15rms_norm_kernelIfLi1ELi2EEEvPT_PKS1_lllllS4_fii,@function
_ZN4vllm15rms_norm_kernelIfLi1ELi2EEEvPT_PKS1_lllllS4_fii: ; @_ZN4vllm15rms_norm_kernelIfLi1ELi2EEEvPT_PKS1_lllllS4_fii
; %bb.0:
	s_clause 0x2
	s_load_b128 s[4:7], s[0:1], 0x8
	s_load_b32 s11, s[0:1], 0x5c
	s_load_b32 s8, s[0:1], 0x48
	s_waitcnt lgkmcnt(0)
	s_mul_i32 s3, s15, s7
	s_mul_hi_u32 s7, s15, s6
	s_mul_i32 s2, s15, s6
	s_add_i32 s3, s7, s3
	s_delay_alu instid0(SALU_CYCLE_1)
	s_lshl_b64 s[6:7], s[2:3], 2
	s_mov_b32 s3, 0
	s_add_u32 s9, s4, s6
	s_addc_u32 s10, s5, s7
	s_and_b32 s2, s9, 3
	s_and_b32 s11, s11, 0xffff
	s_cmp_lg_u64 s[2:3], 0
	s_cbranch_scc0 .LBB4_6
; %bb.1:
	v_mov_b32_e32 v3, 0
	s_min_i32 s2, s8, 0
	s_mov_b32 s12, exec_lo
	s_sub_i32 s13, s8, s2
	s_delay_alu instid0(SALU_CYCLE_1)
	v_cmpx_gt_i32_e64 s13, v0
	s_cbranch_execz .LBB4_5
; %bb.2:
	s_ashr_i32 s3, s2, 31
	v_dual_mov_b32 v4, v0 :: v_dual_lshlrev_b32 v1, 2, v0
	s_lshl_b64 s[2:3], s[2:3], 2
	v_mov_b32_e32 v3, 0
	s_add_u32 s2, s6, s2
	s_addc_u32 s3, s7, s3
	s_add_u32 s2, s4, s2
	s_addc_u32 s3, s5, s3
	v_add_co_u32 v1, s2, s2, v1
	s_delay_alu instid0(VALU_DEP_1)
	v_add_co_ci_u32_e64 v2, null, s3, 0, s2
	s_mov_b32 s3, 0
	s_lshl_b32 s14, s11, 2
.LBB4_3:                                ; =>This Inner Loop Header: Depth=1
	global_load_b32 v5, v[1:2], off
	v_add_nc_u32_e32 v4, s11, v4
	v_add_co_u32 v1, vcc_lo, v1, s14
	v_add_co_ci_u32_e32 v2, vcc_lo, 0, v2, vcc_lo
	s_waitcnt vmcnt(0)
	v_fmac_f32_e32 v3, v5, v5
	v_cmp_le_i32_e64 s2, s13, v4
	s_delay_alu instid0(VALU_DEP_1) | instskip(NEXT) | instid1(SALU_CYCLE_1)
	s_or_b32 s3, s2, s3
	s_and_not1_b32 exec_lo, exec_lo, s3
	s_cbranch_execnz .LBB4_3
; %bb.4:
	s_or_b32 exec_lo, exec_lo, s3
.LBB4_5:
	s_delay_alu instid0(SALU_CYCLE_1)
	s_or_b32 exec_lo, exec_lo, s12
	v_cmp_gt_i32_e64 s2, s8, v0
	s_cbranch_execz .LBB4_7
	s_branch .LBB4_12
.LBB4_6:
                                        ; implicit-def: $vgpr3
	v_cmp_gt_i32_e64 s2, s8, v0
.LBB4_7:
	v_mov_b32_e32 v3, 0
	s_delay_alu instid0(VALU_DEP_2)
	s_and_saveexec_b32 s3, s2
	s_cbranch_execz .LBB4_11
; %bb.8:
	v_dual_mov_b32 v4, v0 :: v_dual_lshlrev_b32 v1, 2, v0
	s_add_u32 s2, s4, s6
	s_addc_u32 s4, s5, s7
	v_mov_b32_e32 v3, 0
	s_delay_alu instid0(VALU_DEP_2) | instskip(NEXT) | instid1(VALU_DEP_1)
	v_add_co_u32 v1, s2, s2, v1
	v_add_co_ci_u32_e64 v2, null, s4, 0, s2
	s_mov_b32 s4, 0
	s_lshl_b32 s5, s11, 2
.LBB4_9:                                ; =>This Inner Loop Header: Depth=1
	global_load_b32 v5, v[1:2], off
	v_add_nc_u32_e32 v4, s11, v4
	v_add_co_u32 v1, vcc_lo, v1, s5
	v_add_co_ci_u32_e32 v2, vcc_lo, 0, v2, vcc_lo
	s_waitcnt vmcnt(0)
	v_fmac_f32_e32 v3, v5, v5
	v_cmp_le_i32_e64 s2, s8, v4
	s_delay_alu instid0(VALU_DEP_1) | instskip(NEXT) | instid1(SALU_CYCLE_1)
	s_or_b32 s4, s2, s4
	s_and_not1_b32 exec_lo, exec_lo, s4
	s_cbranch_execnz .LBB4_9
; %bb.10:
	s_or_b32 exec_lo, exec_lo, s4
.LBB4_11:
	s_delay_alu instid0(SALU_CYCLE_1)
	s_or_b32 exec_lo, exec_lo, s3
.LBB4_12:
	v_mbcnt_lo_u32_b32 v1, -1, 0
	s_mov_b32 s2, exec_lo
	s_delay_alu instid0(VALU_DEP_1) | instskip(SKIP_2) | instid1(VALU_DEP_2)
	v_cmp_ne_u32_e32 vcc_lo, 31, v1
	v_add_co_ci_u32_e32 v2, vcc_lo, 0, v1, vcc_lo
	v_cmp_gt_u32_e32 vcc_lo, 30, v1
	v_lshlrev_b32_e32 v2, 2, v2
	v_cndmask_b32_e64 v6, 0, 1, vcc_lo
	ds_bpermute_b32 v5, v2, v3
	s_waitcnt lgkmcnt(0)
	v_dual_add_f32 v7, v3, v5 :: v_dual_and_b32 v4, 0x3e0, v0
	s_delay_alu instid0(VALU_DEP_1) | instskip(SKIP_1) | instid1(VALU_DEP_1)
	v_sub_nc_u32_e64 v12, s11, v4 clamp
	v_add_nc_u32_e32 v4, 1, v1
	v_cmp_lt_u32_e32 vcc_lo, v4, v12
	s_delay_alu instid0(VALU_DEP_4) | instskip(SKIP_2) | instid1(VALU_DEP_1)
	v_cndmask_b32_e32 v7, v3, v7, vcc_lo
	v_cmp_gt_u32_e32 vcc_lo, 28, v1
	v_cndmask_b32_e64 v3, 0, 1, vcc_lo
	v_lshlrev_b32_e32 v8, 2, v3
	v_add_nc_u32_e32 v3, 2, v1
	s_delay_alu instid0(VALU_DEP_1) | instskip(SKIP_1) | instid1(VALU_DEP_1)
	v_cmp_lt_u32_e32 vcc_lo, v3, v12
	v_lshlrev_b32_e32 v6, 1, v6
	v_add_lshl_u32 v5, v6, v1, 2
	ds_bpermute_b32 v6, v5, v7
	s_waitcnt lgkmcnt(0)
	v_add_f32_e32 v9, v7, v6
	v_add_lshl_u32 v6, v8, v1, 2
	s_delay_alu instid0(VALU_DEP_2) | instskip(SKIP_3) | instid1(VALU_DEP_1)
	v_cndmask_b32_e32 v9, v7, v9, vcc_lo
	v_cmp_gt_u32_e32 vcc_lo, 24, v1
	ds_bpermute_b32 v8, v6, v9
	v_cndmask_b32_e64 v7, 0, 1, vcc_lo
	v_lshlrev_b32_e32 v10, 3, v7
	v_add_nc_u32_e32 v7, 4, v1
	s_delay_alu instid0(VALU_DEP_1) | instskip(SKIP_3) | instid1(VALU_DEP_2)
	v_cmp_lt_u32_e32 vcc_lo, v7, v12
	s_waitcnt lgkmcnt(0)
	v_add_f32_e32 v11, v9, v8
	v_add_lshl_u32 v8, v10, v1, 2
	v_cndmask_b32_e32 v11, v9, v11, vcc_lo
	v_cmp_gt_u32_e32 vcc_lo, 16, v1
	ds_bpermute_b32 v10, v8, v11
	v_cndmask_b32_e64 v9, 0, 1, vcc_lo
	s_delay_alu instid0(VALU_DEP_1) | instskip(SKIP_1) | instid1(VALU_DEP_1)
	v_lshlrev_b32_e32 v13, 4, v9
	v_add_nc_u32_e32 v9, 8, v1
	v_cmp_lt_u32_e32 vcc_lo, v9, v12
	s_waitcnt lgkmcnt(0)
	v_add_f32_e32 v14, v11, v10
	v_add_lshl_u32 v10, v13, v1, 2
	s_delay_alu instid0(VALU_DEP_2)
	v_cndmask_b32_e32 v13, v11, v14, vcc_lo
	v_add_nc_u32_e32 v11, 16, v1
	ds_bpermute_b32 v14, v10, v13
	v_cmp_lt_u32_e32 vcc_lo, v11, v12
	s_waitcnt lgkmcnt(0)
	v_add_f32_e32 v14, v13, v14
	s_delay_alu instid0(VALU_DEP_1)
	v_cndmask_b32_e32 v12, v13, v14, vcc_lo
	v_cmpx_eq_u32_e32 0, v1
	s_cbranch_execz .LBB4_14
; %bb.13:
	v_lshrrev_b32_e32 v13, 3, v0
	s_delay_alu instid0(VALU_DEP_1)
	v_and_b32_e32 v13, 0x7c, v13
	ds_store_b32 v13, v12
.LBB4_14:
	s_or_b32 exec_lo, exec_lo, s2
	s_delay_alu instid0(SALU_CYCLE_1)
	s_mov_b32 s2, exec_lo
	s_waitcnt lgkmcnt(0)
	s_barrier
	buffer_gl0_inv
	v_cmpx_gt_u32_e32 32, v0
	s_cbranch_execz .LBB4_16
; %bb.15:
	v_lshlrev_b32_e32 v1, 2, v1
	s_add_i32 s3, s11, 31
	s_delay_alu instid0(SALU_CYCLE_1) | instskip(NEXT) | instid1(SALU_CYCLE_1)
	s_lshr_b32 s3, s3, 5
	v_cmp_gt_u32_e32 vcc_lo, s3, v4
	ds_load_b32 v1, v1
	s_waitcnt lgkmcnt(0)
	ds_bpermute_b32 v2, v2, v1
	s_waitcnt lgkmcnt(0)
	v_add_f32_e32 v2, v1, v2
	s_delay_alu instid0(VALU_DEP_1) | instskip(SKIP_4) | instid1(VALU_DEP_1)
	v_cndmask_b32_e32 v1, v1, v2, vcc_lo
	v_cmp_gt_u32_e32 vcc_lo, s3, v3
	ds_bpermute_b32 v2, v5, v1
	s_waitcnt lgkmcnt(0)
	v_add_f32_e32 v2, v1, v2
	v_cndmask_b32_e32 v1, v1, v2, vcc_lo
	v_cmp_gt_u32_e32 vcc_lo, s3, v7
	ds_bpermute_b32 v2, v6, v1
	s_waitcnt lgkmcnt(0)
	v_add_f32_e32 v2, v1, v2
	s_delay_alu instid0(VALU_DEP_1) | instskip(SKIP_4) | instid1(VALU_DEP_1)
	v_cndmask_b32_e32 v1, v1, v2, vcc_lo
	v_cmp_gt_u32_e32 vcc_lo, s3, v9
	ds_bpermute_b32 v2, v8, v1
	s_waitcnt lgkmcnt(0)
	v_add_f32_e32 v2, v1, v2
	v_cndmask_b32_e32 v1, v1, v2, vcc_lo
	v_cmp_gt_u32_e32 vcc_lo, s3, v11
	ds_bpermute_b32 v2, v10, v1
	s_waitcnt lgkmcnt(0)
	v_add_f32_e32 v2, v1, v2
	s_delay_alu instid0(VALU_DEP_1)
	v_cndmask_b32_e32 v12, v1, v2, vcc_lo
.LBB4_16:
	s_or_b32 exec_lo, exec_lo, s2
	s_delay_alu instid0(SALU_CYCLE_1)
	s_mov_b32 s2, exec_lo
	v_cmpx_eq_u32_e32 0, v0
	s_cbranch_execz .LBB4_18
; %bb.17:
	v_cvt_f32_i32_e32 v1, s8
	s_load_b32 s3, s[0:1], 0x40
	s_delay_alu instid0(VALU_DEP_1) | instskip(SKIP_1) | instid1(VALU_DEP_2)
	v_div_scale_f32 v2, null, v1, v1, v12
	v_div_scale_f32 v5, vcc_lo, v12, v1, v12
	v_rcp_f32_e32 v3, v2
	s_waitcnt_depctr 0xfff
	v_fma_f32 v4, -v2, v3, 1.0
	s_delay_alu instid0(VALU_DEP_1) | instskip(NEXT) | instid1(VALU_DEP_1)
	v_fmac_f32_e32 v3, v4, v3
	v_mul_f32_e32 v4, v5, v3
	s_delay_alu instid0(VALU_DEP_1) | instskip(NEXT) | instid1(VALU_DEP_1)
	v_fma_f32 v6, -v2, v4, v5
	v_fmac_f32_e32 v4, v6, v3
	s_delay_alu instid0(VALU_DEP_1) | instskip(NEXT) | instid1(VALU_DEP_1)
	v_fma_f32 v2, -v2, v4, v5
	v_div_fmas_f32 v2, v2, v3, v4
	s_delay_alu instid0(VALU_DEP_1) | instskip(SKIP_1) | instid1(VALU_DEP_1)
	v_div_fixup_f32 v1, v2, v1, v12
	s_waitcnt lgkmcnt(0)
	v_add_f32_e32 v1, s3, v1
	s_delay_alu instid0(VALU_DEP_1) | instskip(SKIP_1) | instid1(VALU_DEP_2)
	v_mul_f32_e32 v2, 0x4b800000, v1
	v_cmp_gt_f32_e32 vcc_lo, 0x800000, v1
	v_cndmask_b32_e32 v1, v1, v2, vcc_lo
	s_delay_alu instid0(VALU_DEP_1) | instskip(SKIP_2) | instid1(VALU_DEP_1)
	v_rsq_f32_e32 v1, v1
	s_waitcnt_depctr 0xfff
	v_mul_f32_e32 v2, 0x45800000, v1
	v_dual_cndmask_b32 v1, v1, v2 :: v_dual_mov_b32 v2, 0
	ds_store_b32 v2, v1 offset:128
.LBB4_18:
	s_or_b32 exec_lo, exec_lo, s2
	s_waitcnt lgkmcnt(0)
	s_barrier
	buffer_gl0_inv
	s_mov_b32 s2, exec_lo
	v_cmpx_gt_i32_e64 s8, v0
	s_cbranch_execz .LBB4_21
; %bb.19:
	v_mov_b32_e32 v1, 0
	s_clause 0x1
	s_load_b64 s[4:5], s[0:1], 0x0
	s_load_b64 s[2:3], s[0:1], 0x38
	s_mul_i32 s0, s15, s8
	s_mov_b32 s1, 0
	s_delay_alu instid0(SALU_CYCLE_1)
	s_lshl_b64 s[6:7], s[0:1], 2
	ds_load_b32 v2, v1 offset:128
	s_waitcnt lgkmcnt(0)
	s_add_u32 s4, s4, s6
	s_addc_u32 s5, s5, s7
	.p2align	6
.LBB4_20:                               ; =>This Inner Loop Header: Depth=1
	v_ashrrev_i32_e32 v1, 31, v0
	s_delay_alu instid0(VALU_DEP_1) | instskip(NEXT) | instid1(VALU_DEP_1)
	v_lshlrev_b64 v[3:4], 2, v[0:1]
	v_add_co_u32 v5, vcc_lo, s9, v3
	s_delay_alu instid0(VALU_DEP_2)
	v_add_co_ci_u32_e32 v6, vcc_lo, s10, v4, vcc_lo
	v_add_co_u32 v7, vcc_lo, s2, v3
	v_add_co_ci_u32_e32 v8, vcc_lo, s3, v4, vcc_lo
	v_add_co_u32 v3, s0, s4, v3
	global_load_b32 v1, v[5:6], off
	global_load_b32 v5, v[7:8], off
	v_add_nc_u32_e32 v0, s11, v0
	v_add_co_ci_u32_e64 v4, s0, s5, v4, s0
	s_waitcnt vmcnt(1)
	v_mul_f32_e32 v1, v1, v2
	s_delay_alu instid0(VALU_DEP_3) | instskip(SKIP_1) | instid1(VALU_DEP_2)
	v_cmp_le_i32_e32 vcc_lo, s8, v0
	s_waitcnt vmcnt(0)
	v_mul_f32_e32 v1, v5, v1
	s_or_b32 s1, vcc_lo, s1
	global_store_b32 v[3:4], v1, off
	s_and_not1_b32 exec_lo, exec_lo, s1
	s_cbranch_execnz .LBB4_20
.LBB4_21:
	s_nop 0
	s_sendmsg sendmsg(MSG_DEALLOC_VGPRS)
	s_endpgm
	.section	.rodata,"a",@progbits
	.p2align	6, 0x0
	.amdhsa_kernel _ZN4vllm15rms_norm_kernelIfLi1ELi2EEEvPT_PKS1_lllllS4_fii
		.amdhsa_group_segment_fixed_size 132
		.amdhsa_private_segment_fixed_size 0
		.amdhsa_kernarg_size 336
		.amdhsa_user_sgpr_count 15
		.amdhsa_user_sgpr_dispatch_ptr 0
		.amdhsa_user_sgpr_queue_ptr 0
		.amdhsa_user_sgpr_kernarg_segment_ptr 1
		.amdhsa_user_sgpr_dispatch_id 0
		.amdhsa_user_sgpr_private_segment_size 0
		.amdhsa_wavefront_size32 1
		.amdhsa_uses_dynamic_stack 0
		.amdhsa_enable_private_segment 0
		.amdhsa_system_sgpr_workgroup_id_x 1
		.amdhsa_system_sgpr_workgroup_id_y 0
		.amdhsa_system_sgpr_workgroup_id_z 0
		.amdhsa_system_sgpr_workgroup_info 0
		.amdhsa_system_vgpr_workitem_id 0
		.amdhsa_next_free_vgpr 15
		.amdhsa_next_free_sgpr 16
		.amdhsa_reserve_vcc 1
		.amdhsa_float_round_mode_32 0
		.amdhsa_float_round_mode_16_64 0
		.amdhsa_float_denorm_mode_32 3
		.amdhsa_float_denorm_mode_16_64 3
		.amdhsa_dx10_clamp 1
		.amdhsa_ieee_mode 1
		.amdhsa_fp16_overflow 0
		.amdhsa_workgroup_processor_mode 1
		.amdhsa_memory_ordered 1
		.amdhsa_forward_progress 0
		.amdhsa_shared_vgpr_count 0
		.amdhsa_exception_fp_ieee_invalid_op 0
		.amdhsa_exception_fp_denorm_src 0
		.amdhsa_exception_fp_ieee_div_zero 0
		.amdhsa_exception_fp_ieee_overflow 0
		.amdhsa_exception_fp_ieee_underflow 0
		.amdhsa_exception_fp_ieee_inexact 0
		.amdhsa_exception_int_div_zero 0
	.end_amdhsa_kernel
	.section	.text._ZN4vllm15rms_norm_kernelIfLi1ELi2EEEvPT_PKS1_lllllS4_fii,"axG",@progbits,_ZN4vllm15rms_norm_kernelIfLi1ELi2EEEvPT_PKS1_lllllS4_fii,comdat
.Lfunc_end4:
	.size	_ZN4vllm15rms_norm_kernelIfLi1ELi2EEEvPT_PKS1_lllllS4_fii, .Lfunc_end4-_ZN4vllm15rms_norm_kernelIfLi1ELi2EEEvPT_PKS1_lllllS4_fii
                                        ; -- End function
	.section	.AMDGPU.csdata,"",@progbits
; Kernel info:
; codeLenInByte = 1376
; NumSgprs: 18
; NumVgprs: 15
; ScratchSize: 0
; MemoryBound: 0
; FloatMode: 240
; IeeeMode: 1
; LDSByteSize: 132 bytes/workgroup (compile time only)
; SGPRBlocks: 2
; VGPRBlocks: 1
; NumSGPRsForWavesPerEU: 18
; NumVGPRsForWavesPerEU: 15
; Occupancy: 16
; WaveLimiterHint : 0
; COMPUTE_PGM_RSRC2:SCRATCH_EN: 0
; COMPUTE_PGM_RSRC2:USER_SGPR: 15
; COMPUTE_PGM_RSRC2:TRAP_HANDLER: 0
; COMPUTE_PGM_RSRC2:TGID_X_EN: 1
; COMPUTE_PGM_RSRC2:TGID_Y_EN: 0
; COMPUTE_PGM_RSRC2:TGID_Z_EN: 0
; COMPUTE_PGM_RSRC2:TIDIG_COMP_CNT: 0
	.section	.text._ZN4vllm15rms_norm_kernelIN3c104HalfELi16ELi2EEEvPT_PKS3_lllllS6_fii,"axG",@progbits,_ZN4vllm15rms_norm_kernelIN3c104HalfELi16ELi2EEEvPT_PKS3_lllllS6_fii,comdat
	.protected	_ZN4vllm15rms_norm_kernelIN3c104HalfELi16ELi2EEEvPT_PKS3_lllllS6_fii ; -- Begin function _ZN4vllm15rms_norm_kernelIN3c104HalfELi16ELi2EEEvPT_PKS3_lllllS6_fii
	.globl	_ZN4vllm15rms_norm_kernelIN3c104HalfELi16ELi2EEEvPT_PKS3_lllllS6_fii
	.p2align	8
	.type	_ZN4vllm15rms_norm_kernelIN3c104HalfELi16ELi2EEEvPT_PKS3_lllllS6_fii,@function
_ZN4vllm15rms_norm_kernelIN3c104HalfELi16ELi2EEEvPT_PKS3_lllllS6_fii: ; @_ZN4vllm15rms_norm_kernelIN3c104HalfELi16ELi2EEEvPT_PKS3_lllllS6_fii
; %bb.0:
	s_clause 0x2
	s_load_b128 s[4:7], s[0:1], 0x8
	s_load_b32 s2, s[0:1], 0x5c
	s_load_b32 s3, s[0:1], 0x48
	s_mov_b32 s9, 0
	s_waitcnt lgkmcnt(0)
	s_mul_i32 s7, s15, s7
	s_mul_hi_u32 s8, s15, s6
	s_mul_i32 s6, s15, s6
	s_add_i32 s7, s8, s7
	s_delay_alu instid0(SALU_CYCLE_1) | instskip(NEXT) | instid1(SALU_CYCLE_1)
	s_lshl_b64 s[6:7], s[6:7], 1
	s_add_u32 s10, s4, s6
	s_addc_u32 s11, s5, s7
	s_and_b32 s8, s10, 31
	s_and_b32 s12, s2, 0xffff
	s_cmp_lg_u64 s[8:9], 0
	s_cselect_b32 s2, -1, 0
	s_and_b32 s8, s3, 15
	s_delay_alu instid0(SALU_CYCLE_1) | instskip(SKIP_1) | instid1(SALU_CYCLE_1)
	s_cmp_lg_u32 s8, 0
	s_cselect_b32 s8, -1, 0
	s_or_b32 s2, s2, s8
	s_delay_alu instid0(SALU_CYCLE_1)
	s_and_b32 vcc_lo, exec_lo, s2
	s_cbranch_vccz .LBB5_14
; %bb.1:
	s_sub_i32 s2, 0, s10
	v_mov_b32_e32 v4, 0
	s_bfe_u32 s2, s2, 0x40001
	s_mov_b32 s9, exec_lo
	s_min_i32 s8, s2, s3
	s_delay_alu instid0(SALU_CYCLE_1)
	v_cmpx_gt_i32_e64 s8, v0
	s_cbranch_execz .LBB5_5
; %bb.2:
	v_dual_mov_b32 v4, 0 :: v_dual_lshlrev_b32 v1, 1, v0
	s_add_u32 s2, s4, s6
	s_addc_u32 s13, s5, s7
	v_mov_b32_e32 v3, v0
	s_delay_alu instid0(VALU_DEP_2) | instskip(NEXT) | instid1(VALU_DEP_1)
	v_add_co_u32 v1, s2, s2, v1
	v_add_co_ci_u32_e64 v2, null, s13, 0, s2
	s_mov_b32 s13, 0
	s_lshl_b32 s14, s12, 1
.LBB5_3:                                ; =>This Inner Loop Header: Depth=1
	global_load_u16 v5, v[1:2], off
	v_add_nc_u32_e32 v3, s12, v3
	v_add_co_u32 v1, vcc_lo, v1, s14
	v_add_co_ci_u32_e32 v2, vcc_lo, 0, v2, vcc_lo
	s_delay_alu instid0(VALU_DEP_3) | instskip(NEXT) | instid1(VALU_DEP_1)
	v_cmp_le_i32_e64 s2, s8, v3
	s_or_b32 s13, s2, s13
	s_waitcnt vmcnt(0)
	v_fma_mix_f32 v4, v5, v5, v4 op_sel_hi:[1,1,0]
	s_and_not1_b32 exec_lo, exec_lo, s13
	s_cbranch_execnz .LBB5_3
; %bb.4:
	s_or_b32 exec_lo, exec_lo, s13
.LBB5_5:
	s_delay_alu instid0(SALU_CYCLE_1)
	s_or_b32 exec_lo, exec_lo, s9
	s_sub_i32 s13, s3, s8
	s_ashr_i32 s9, s8, 31
	s_ashr_i32 s2, s13, 31
	s_mov_b32 s16, exec_lo
	s_lshr_b32 s2, s2, 28
	s_delay_alu instid0(SALU_CYCLE_1) | instskip(NEXT) | instid1(SALU_CYCLE_1)
	s_add_i32 s2, s13, s2
	s_ashr_i32 s14, s2, 4
	s_delay_alu instid0(SALU_CYCLE_1)
	v_cmpx_gt_i32_e64 s14, v0
	s_cbranch_execz .LBB5_9
; %bb.6:
	s_lshl_b64 s[18:19], s[8:9], 1
	v_lshlrev_b32_e32 v1, 5, v0
	s_add_u32 s2, s4, s18
	s_addc_u32 s17, s5, s19
	s_add_u32 s2, s2, s6
	s_addc_u32 s17, s17, s7
	v_add_co_u32 v1, s2, s2, v1
	s_delay_alu instid0(VALU_DEP_1)
	v_add_co_ci_u32_e64 v2, null, s17, 0, s2
	v_mov_b32_e32 v3, v0
	s_mov_b32 s17, 0
	s_lshl_b32 s18, s12, 5
	s_set_inst_prefetch_distance 0x1
	.p2align	6
.LBB5_7:                                ; =>This Inner Loop Header: Depth=1
	s_clause 0x1
	global_load_b128 v[5:8], v[1:2], off
	global_load_b128 v[9:12], v[1:2], off offset:16
	v_add_nc_u32_e32 v3, s12, v3
	v_add_co_u32 v1, vcc_lo, v1, s18
	v_add_co_ci_u32_e32 v2, vcc_lo, 0, v2, vcc_lo
	s_delay_alu instid0(VALU_DEP_3) | instskip(NEXT) | instid1(VALU_DEP_1)
	v_cmp_le_i32_e64 s2, s14, v3
	s_or_b32 s17, s2, s17
	s_waitcnt vmcnt(1)
	v_fma_mix_f32 v4, v5, v5, v4 op_sel_hi:[1,1,0]
	s_delay_alu instid0(VALU_DEP_1) | instskip(NEXT) | instid1(VALU_DEP_1)
	v_fma_mix_f32 v4, v5, v5, v4 op_sel:[1,1,0] op_sel_hi:[1,1,0]
	v_fma_mix_f32 v4, v6, v6, v4 op_sel_hi:[1,1,0]
	s_delay_alu instid0(VALU_DEP_1) | instskip(NEXT) | instid1(VALU_DEP_1)
	v_fma_mix_f32 v4, v6, v6, v4 op_sel:[1,1,0] op_sel_hi:[1,1,0]
	;; [unrolled: 3-line block ×3, first 2 shown]
	v_fma_mix_f32 v4, v8, v8, v4 op_sel_hi:[1,1,0]
	s_delay_alu instid0(VALU_DEP_1) | instskip(SKIP_1) | instid1(VALU_DEP_1)
	v_fma_mix_f32 v4, v8, v8, v4 op_sel:[1,1,0] op_sel_hi:[1,1,0]
	s_waitcnt vmcnt(0)
	v_fma_mix_f32 v4, v9, v9, v4 op_sel_hi:[1,1,0]
	s_delay_alu instid0(VALU_DEP_1) | instskip(NEXT) | instid1(VALU_DEP_1)
	v_fma_mix_f32 v4, v9, v9, v4 op_sel:[1,1,0] op_sel_hi:[1,1,0]
	v_fma_mix_f32 v4, v10, v10, v4 op_sel_hi:[1,1,0]
	s_delay_alu instid0(VALU_DEP_1) | instskip(NEXT) | instid1(VALU_DEP_1)
	v_fma_mix_f32 v4, v10, v10, v4 op_sel:[1,1,0] op_sel_hi:[1,1,0]
	;; [unrolled: 3-line block ×3, first 2 shown]
	v_fma_mix_f32 v4, v12, v12, v4 op_sel_hi:[1,1,0]
	s_delay_alu instid0(VALU_DEP_1)
	v_fma_mix_f32 v4, v12, v12, v4 op_sel:[1,1,0] op_sel_hi:[1,1,0]
	s_and_not1_b32 exec_lo, exec_lo, s17
	s_cbranch_execnz .LBB5_7
; %bb.8:
	s_set_inst_prefetch_distance 0x2
	s_or_b32 exec_lo, exec_lo, s17
.LBB5_9:
	s_delay_alu instid0(SALU_CYCLE_1) | instskip(SKIP_2) | instid1(VALU_DEP_1)
	s_or_b32 exec_lo, exec_lo, s16
	v_lshl_add_u32 v1, s14, 4, v0
	s_mov_b32 s14, exec_lo
	v_cmpx_gt_i32_e64 s13, v1
	s_cbranch_execz .LBB5_13
; %bb.10:
	v_ashrrev_i32_e32 v2, 31, v1
	s_lshl_b64 s[8:9], s[8:9], 1
	s_delay_alu instid0(SALU_CYCLE_1) | instskip(SKIP_1) | instid1(VALU_DEP_1)
	s_add_u32 s2, s6, s8
	s_addc_u32 s8, s7, s9
	v_lshlrev_b64 v[2:3], 1, v[1:2]
	s_add_u32 s2, s4, s2
	s_addc_u32 s8, s5, s8
	s_lshl_b32 s9, s12, 1
	s_delay_alu instid0(VALU_DEP_1) | instskip(NEXT) | instid1(VALU_DEP_2)
	v_add_co_u32 v2, vcc_lo, s2, v2
	v_add_co_ci_u32_e32 v3, vcc_lo, s8, v3, vcc_lo
	s_mov_b32 s8, 0
.LBB5_11:                               ; =>This Inner Loop Header: Depth=1
	global_load_u16 v5, v[2:3], off
	v_add_nc_u32_e32 v1, s12, v1
	v_add_co_u32 v2, vcc_lo, v2, s9
	v_add_co_ci_u32_e32 v3, vcc_lo, 0, v3, vcc_lo
	s_delay_alu instid0(VALU_DEP_3) | instskip(NEXT) | instid1(VALU_DEP_1)
	v_cmp_le_i32_e64 s2, s13, v1
	s_or_b32 s8, s2, s8
	s_waitcnt vmcnt(0)
	v_fma_mix_f32 v4, v5, v5, v4 op_sel_hi:[1,1,0]
	s_and_not1_b32 exec_lo, exec_lo, s8
	s_cbranch_execnz .LBB5_11
; %bb.12:
	s_or_b32 exec_lo, exec_lo, s8
.LBB5_13:
	s_delay_alu instid0(SALU_CYCLE_1)
	s_or_b32 exec_lo, exec_lo, s14
	s_branch .LBB5_20
.LBB5_14:
                                        ; implicit-def: $vgpr4
	s_cbranch_execz .LBB5_20
; %bb.15:
	v_mov_b32_e32 v4, 0
	s_ashr_i32 s9, s3, 4
	s_mov_b32 s8, exec_lo
	v_cmpx_gt_i32_e64 s9, v0
	s_cbranch_execz .LBB5_19
; %bb.16:
	v_dual_mov_b32 v4, 0 :: v_dual_lshlrev_b32 v1, 5, v0
	s_add_u32 s2, s4, s6
	s_addc_u32 s4, s5, s7
	v_mov_b32_e32 v3, v0
	s_delay_alu instid0(VALU_DEP_2) | instskip(NEXT) | instid1(VALU_DEP_1)
	v_add_co_u32 v1, s2, s2, v1
	v_add_co_ci_u32_e64 v2, null, s4, 0, s2
	s_mov_b32 s4, 0
	s_lshl_b32 s5, s12, 5
	s_set_inst_prefetch_distance 0x1
	.p2align	6
.LBB5_17:                               ; =>This Inner Loop Header: Depth=1
	s_clause 0x1
	global_load_b128 v[5:8], v[1:2], off
	global_load_b128 v[9:12], v[1:2], off offset:16
	v_add_nc_u32_e32 v3, s12, v3
	v_add_co_u32 v1, vcc_lo, v1, s5
	v_add_co_ci_u32_e32 v2, vcc_lo, 0, v2, vcc_lo
	s_delay_alu instid0(VALU_DEP_3) | instskip(NEXT) | instid1(VALU_DEP_1)
	v_cmp_le_i32_e64 s2, s9, v3
	s_or_b32 s4, s2, s4
	s_waitcnt vmcnt(1)
	v_fma_mix_f32 v4, v5, v5, v4 op_sel_hi:[1,1,0]
	s_delay_alu instid0(VALU_DEP_1) | instskip(NEXT) | instid1(VALU_DEP_1)
	v_fma_mix_f32 v4, v5, v5, v4 op_sel:[1,1,0] op_sel_hi:[1,1,0]
	v_fma_mix_f32 v4, v6, v6, v4 op_sel_hi:[1,1,0]
	s_delay_alu instid0(VALU_DEP_1) | instskip(NEXT) | instid1(VALU_DEP_1)
	v_fma_mix_f32 v4, v6, v6, v4 op_sel:[1,1,0] op_sel_hi:[1,1,0]
	;; [unrolled: 3-line block ×3, first 2 shown]
	v_fma_mix_f32 v4, v8, v8, v4 op_sel_hi:[1,1,0]
	s_delay_alu instid0(VALU_DEP_1) | instskip(SKIP_1) | instid1(VALU_DEP_1)
	v_fma_mix_f32 v4, v8, v8, v4 op_sel:[1,1,0] op_sel_hi:[1,1,0]
	s_waitcnt vmcnt(0)
	v_fma_mix_f32 v4, v9, v9, v4 op_sel_hi:[1,1,0]
	s_delay_alu instid0(VALU_DEP_1) | instskip(NEXT) | instid1(VALU_DEP_1)
	v_fma_mix_f32 v4, v9, v9, v4 op_sel:[1,1,0] op_sel_hi:[1,1,0]
	v_fma_mix_f32 v4, v10, v10, v4 op_sel_hi:[1,1,0]
	s_delay_alu instid0(VALU_DEP_1) | instskip(NEXT) | instid1(VALU_DEP_1)
	v_fma_mix_f32 v4, v10, v10, v4 op_sel:[1,1,0] op_sel_hi:[1,1,0]
	;; [unrolled: 3-line block ×3, first 2 shown]
	v_fma_mix_f32 v4, v12, v12, v4 op_sel_hi:[1,1,0]
	s_delay_alu instid0(VALU_DEP_1)
	v_fma_mix_f32 v4, v12, v12, v4 op_sel:[1,1,0] op_sel_hi:[1,1,0]
	s_and_not1_b32 exec_lo, exec_lo, s4
	s_cbranch_execnz .LBB5_17
; %bb.18:
	s_set_inst_prefetch_distance 0x2
	s_or_b32 exec_lo, exec_lo, s4
.LBB5_19:
	s_delay_alu instid0(SALU_CYCLE_1)
	s_or_b32 exec_lo, exec_lo, s8
.LBB5_20:
	v_mbcnt_lo_u32_b32 v1, -1, 0
	v_and_b32_e32 v3, 0x3e0, v0
	s_mov_b32 s2, exec_lo
	s_delay_alu instid0(VALU_DEP_2) | instskip(NEXT) | instid1(VALU_DEP_2)
	v_cmp_ne_u32_e32 vcc_lo, 31, v1
	v_sub_nc_u32_e64 v12, s12, v3 clamp
	v_add_nc_u32_e32 v3, 1, v1
	v_add_co_ci_u32_e32 v2, vcc_lo, 0, v1, vcc_lo
	v_cmp_gt_u32_e32 vcc_lo, 30, v1
	s_delay_alu instid0(VALU_DEP_2)
	v_lshlrev_b32_e32 v2, 2, v2
	v_cndmask_b32_e64 v6, 0, 1, vcc_lo
	v_cmp_lt_u32_e32 vcc_lo, v3, v12
	ds_bpermute_b32 v5, v2, v4
	s_waitcnt lgkmcnt(0)
	v_dual_add_f32 v7, v4, v5 :: v_dual_lshlrev_b32 v6, 1, v6
	s_delay_alu instid0(VALU_DEP_1) | instskip(NEXT) | instid1(VALU_DEP_2)
	v_cndmask_b32_e32 v7, v4, v7, vcc_lo
	v_add_lshl_u32 v5, v6, v1, 2
	v_cmp_gt_u32_e32 vcc_lo, 28, v1
	ds_bpermute_b32 v6, v5, v7
	v_cndmask_b32_e64 v4, 0, 1, vcc_lo
	s_delay_alu instid0(VALU_DEP_1) | instskip(SKIP_1) | instid1(VALU_DEP_1)
	v_lshlrev_b32_e32 v8, 2, v4
	v_add_nc_u32_e32 v4, 2, v1
	v_cmp_lt_u32_e32 vcc_lo, v4, v12
	s_waitcnt lgkmcnt(0)
	v_add_f32_e32 v9, v7, v6
	v_add_lshl_u32 v6, v8, v1, 2
	s_delay_alu instid0(VALU_DEP_2) | instskip(SKIP_2) | instid1(VALU_DEP_1)
	v_cndmask_b32_e32 v9, v7, v9, vcc_lo
	v_cmp_gt_u32_e32 vcc_lo, 24, v1
	v_cndmask_b32_e64 v7, 0, 1, vcc_lo
	v_lshlrev_b32_e32 v10, 3, v7
	ds_bpermute_b32 v8, v6, v9
	v_add_nc_u32_e32 v7, 4, v1
	s_delay_alu instid0(VALU_DEP_1) | instskip(SKIP_3) | instid1(VALU_DEP_2)
	v_cmp_lt_u32_e32 vcc_lo, v7, v12
	s_waitcnt lgkmcnt(0)
	v_add_f32_e32 v11, v9, v8
	v_add_lshl_u32 v8, v10, v1, 2
	v_cndmask_b32_e32 v11, v9, v11, vcc_lo
	v_cmp_gt_u32_e32 vcc_lo, 16, v1
	ds_bpermute_b32 v10, v8, v11
	v_cndmask_b32_e64 v9, 0, 1, vcc_lo
	s_delay_alu instid0(VALU_DEP_1) | instskip(SKIP_1) | instid1(VALU_DEP_1)
	v_lshlrev_b32_e32 v13, 4, v9
	v_add_nc_u32_e32 v9, 8, v1
	v_cmp_lt_u32_e32 vcc_lo, v9, v12
	s_waitcnt lgkmcnt(0)
	v_add_f32_e32 v14, v11, v10
	v_add_lshl_u32 v10, v13, v1, 2
	s_delay_alu instid0(VALU_DEP_2)
	v_cndmask_b32_e32 v13, v11, v14, vcc_lo
	v_add_nc_u32_e32 v11, 16, v1
	ds_bpermute_b32 v14, v10, v13
	v_cmp_lt_u32_e32 vcc_lo, v11, v12
	s_waitcnt lgkmcnt(0)
	v_add_f32_e32 v14, v13, v14
	s_delay_alu instid0(VALU_DEP_1)
	v_cndmask_b32_e32 v12, v13, v14, vcc_lo
	v_cmpx_eq_u32_e32 0, v1
	s_cbranch_execz .LBB5_22
; %bb.21:
	v_lshrrev_b32_e32 v13, 3, v0
	s_delay_alu instid0(VALU_DEP_1)
	v_and_b32_e32 v13, 0x7c, v13
	ds_store_b32 v13, v12
.LBB5_22:
	s_or_b32 exec_lo, exec_lo, s2
	s_delay_alu instid0(SALU_CYCLE_1)
	s_mov_b32 s2, exec_lo
	s_waitcnt lgkmcnt(0)
	s_barrier
	buffer_gl0_inv
	v_cmpx_gt_u32_e32 32, v0
	s_cbranch_execz .LBB5_24
; %bb.23:
	v_lshlrev_b32_e32 v1, 2, v1
	s_add_i32 s4, s12, 31
	s_delay_alu instid0(SALU_CYCLE_1) | instskip(NEXT) | instid1(SALU_CYCLE_1)
	s_lshr_b32 s4, s4, 5
	v_cmp_gt_u32_e32 vcc_lo, s4, v3
	ds_load_b32 v1, v1
	s_waitcnt lgkmcnt(0)
	ds_bpermute_b32 v2, v2, v1
	s_waitcnt lgkmcnt(0)
	v_add_f32_e32 v2, v1, v2
	s_delay_alu instid0(VALU_DEP_1) | instskip(SKIP_4) | instid1(VALU_DEP_1)
	v_cndmask_b32_e32 v1, v1, v2, vcc_lo
	v_cmp_gt_u32_e32 vcc_lo, s4, v4
	ds_bpermute_b32 v2, v5, v1
	s_waitcnt lgkmcnt(0)
	v_add_f32_e32 v2, v1, v2
	v_cndmask_b32_e32 v1, v1, v2, vcc_lo
	v_cmp_gt_u32_e32 vcc_lo, s4, v7
	ds_bpermute_b32 v2, v6, v1
	s_waitcnt lgkmcnt(0)
	v_add_f32_e32 v2, v1, v2
	s_delay_alu instid0(VALU_DEP_1) | instskip(SKIP_4) | instid1(VALU_DEP_1)
	v_cndmask_b32_e32 v1, v1, v2, vcc_lo
	v_cmp_gt_u32_e32 vcc_lo, s4, v9
	ds_bpermute_b32 v2, v8, v1
	s_waitcnt lgkmcnt(0)
	v_add_f32_e32 v2, v1, v2
	v_cndmask_b32_e32 v1, v1, v2, vcc_lo
	v_cmp_gt_u32_e32 vcc_lo, s4, v11
	ds_bpermute_b32 v2, v10, v1
	s_waitcnt lgkmcnt(0)
	v_add_f32_e32 v2, v1, v2
	s_delay_alu instid0(VALU_DEP_1)
	v_cndmask_b32_e32 v12, v1, v2, vcc_lo
.LBB5_24:
	s_or_b32 exec_lo, exec_lo, s2
	s_delay_alu instid0(SALU_CYCLE_1)
	s_mov_b32 s2, exec_lo
	v_cmpx_eq_u32_e32 0, v0
	s_cbranch_execz .LBB5_26
; %bb.25:
	v_cvt_f32_i32_e32 v1, s3
	s_load_b32 s4, s[0:1], 0x40
	s_delay_alu instid0(VALU_DEP_1) | instskip(SKIP_1) | instid1(VALU_DEP_2)
	v_div_scale_f32 v2, null, v1, v1, v12
	v_div_scale_f32 v5, vcc_lo, v12, v1, v12
	v_rcp_f32_e32 v3, v2
	s_waitcnt_depctr 0xfff
	v_fma_f32 v4, -v2, v3, 1.0
	s_delay_alu instid0(VALU_DEP_1) | instskip(NEXT) | instid1(VALU_DEP_1)
	v_fmac_f32_e32 v3, v4, v3
	v_mul_f32_e32 v4, v5, v3
	s_delay_alu instid0(VALU_DEP_1) | instskip(NEXT) | instid1(VALU_DEP_1)
	v_fma_f32 v6, -v2, v4, v5
	v_fmac_f32_e32 v4, v6, v3
	s_delay_alu instid0(VALU_DEP_1) | instskip(NEXT) | instid1(VALU_DEP_1)
	v_fma_f32 v2, -v2, v4, v5
	v_div_fmas_f32 v2, v2, v3, v4
	s_delay_alu instid0(VALU_DEP_1) | instskip(SKIP_1) | instid1(VALU_DEP_1)
	v_div_fixup_f32 v1, v2, v1, v12
	s_waitcnt lgkmcnt(0)
	v_add_f32_e32 v1, s4, v1
	s_delay_alu instid0(VALU_DEP_1) | instskip(SKIP_1) | instid1(VALU_DEP_2)
	v_mul_f32_e32 v2, 0x4b800000, v1
	v_cmp_gt_f32_e32 vcc_lo, 0x800000, v1
	v_cndmask_b32_e32 v1, v1, v2, vcc_lo
	s_delay_alu instid0(VALU_DEP_1) | instskip(SKIP_2) | instid1(VALU_DEP_1)
	v_rsq_f32_e32 v1, v1
	s_waitcnt_depctr 0xfff
	v_mul_f32_e32 v2, 0x45800000, v1
	v_dual_cndmask_b32 v1, v1, v2 :: v_dual_mov_b32 v2, 0
	ds_store_b32 v2, v1 offset:128
.LBB5_26:
	s_or_b32 exec_lo, exec_lo, s2
	s_ashr_i32 s2, s3, 31
	s_waitcnt lgkmcnt(0)
	s_lshr_b32 s2, s2, 28
	s_barrier
	s_add_i32 s2, s3, s2
	buffer_gl0_inv
	s_ashr_i32 s4, s2, 4
	s_mov_b32 s2, exec_lo
	v_cmpx_gt_i32_e64 s4, v0
	s_cbranch_execz .LBB5_29
; %bb.27:
	v_dual_mov_b32 v1, 0 :: v_dual_lshlrev_b32 v2, 5, v0
	s_clause 0x1
	s_load_b64 s[6:7], s[0:1], 0x0
	s_load_b64 s[0:1], s[0:1], 0x38
	s_mul_i32 s2, s15, s3
	s_mov_b32 s3, 0
	ds_load_b32 v1, v1 offset:128
	s_lshl_b64 s[8:9], s[2:3], 1
	s_waitcnt lgkmcnt(0)
	s_add_u32 s2, s6, s8
	s_addc_u32 s5, s7, s9
	s_lshl_b32 s6, s12, 5
.LBB5_28:                               ; =>This Inner Loop Header: Depth=1
	v_add_co_u32 v7, s7, s10, v2
	s_delay_alu instid0(VALU_DEP_1) | instskip(SKIP_1) | instid1(VALU_DEP_1)
	v_add_co_ci_u32_e64 v8, null, s11, 0, s7
	v_add_co_u32 v15, s7, s0, v2
	v_add_co_ci_u32_e64 v16, null, s1, 0, s7
	s_clause 0x1
	global_load_b128 v[3:6], v[7:8], off
	global_load_b128 v[7:10], v[7:8], off offset:16
	s_clause 0x1
	global_load_b128 v[11:14], v[15:16], off
	global_load_b128 v[15:18], v[15:16], off offset:16
	v_add_nc_u32_e32 v0, s12, v0
	v_add_co_u32 v19, s7, s2, v2
	s_add_u32 s2, s2, s6
	v_add_co_ci_u32_e64 v20, null, s5, 0, s7
	s_addc_u32 s5, s5, 0
	v_cmp_le_i32_e32 vcc_lo, s4, v0
	s_add_u32 s10, s10, s6
	s_addc_u32 s11, s11, 0
	s_add_u32 s0, s0, s6
	s_addc_u32 s1, s1, 0
	s_or_b32 s3, vcc_lo, s3
	s_waitcnt vmcnt(3)
	v_fma_mixlo_f16 v21, v1, v3, 0 op_sel_hi:[0,1,0]
	v_fma_mixlo_f16 v22, v1, v4, 0 op_sel_hi:[0,1,0]
	;; [unrolled: 1-line block ×4, first 2 shown]
	s_waitcnt vmcnt(2)
	v_fma_mixlo_f16 v25, v1, v7, 0 op_sel_hi:[0,1,0]
	v_fma_mixlo_f16 v26, v1, v8, 0 op_sel_hi:[0,1,0]
	;; [unrolled: 1-line block ×4, first 2 shown]
	v_fma_mixhi_f16 v21, v1, v3, 0 op_sel:[0,1,0] op_sel_hi:[0,1,0]
	v_fma_mixhi_f16 v22, v1, v4, 0 op_sel:[0,1,0] op_sel_hi:[0,1,0]
	v_fma_mixhi_f16 v23, v1, v5, 0 op_sel:[0,1,0] op_sel_hi:[0,1,0]
	v_fma_mixhi_f16 v24, v1, v6, 0 op_sel:[0,1,0] op_sel_hi:[0,1,0]
	v_fma_mixhi_f16 v25, v1, v7, 0 op_sel:[0,1,0] op_sel_hi:[0,1,0]
	v_fma_mixhi_f16 v26, v1, v8, 0 op_sel:[0,1,0] op_sel_hi:[0,1,0]
	v_fma_mixhi_f16 v27, v1, v9, 0 op_sel:[0,1,0] op_sel_hi:[0,1,0]
	v_fma_mixhi_f16 v28, v1, v10, 0 op_sel:[0,1,0] op_sel_hi:[0,1,0]
	s_waitcnt vmcnt(1)
	v_pk_mul_f16 v3, v11, v21
	v_pk_mul_f16 v4, v12, v22
	;; [unrolled: 1-line block ×4, first 2 shown]
	s_waitcnt vmcnt(0)
	v_pk_mul_f16 v7, v15, v25
	v_pk_mul_f16 v8, v16, v26
	;; [unrolled: 1-line block ×4, first 2 shown]
	s_clause 0x1
	global_store_b128 v[19:20], v[3:6], off
	global_store_b128 v[19:20], v[7:10], off offset:16
	s_and_not1_b32 exec_lo, exec_lo, s3
	s_cbranch_execnz .LBB5_28
.LBB5_29:
	s_nop 0
	s_sendmsg sendmsg(MSG_DEALLOC_VGPRS)
	s_endpgm
	.section	.rodata,"a",@progbits
	.p2align	6, 0x0
	.amdhsa_kernel _ZN4vllm15rms_norm_kernelIN3c104HalfELi16ELi2EEEvPT_PKS3_lllllS6_fii
		.amdhsa_group_segment_fixed_size 132
		.amdhsa_private_segment_fixed_size 0
		.amdhsa_kernarg_size 336
		.amdhsa_user_sgpr_count 15
		.amdhsa_user_sgpr_dispatch_ptr 0
		.amdhsa_user_sgpr_queue_ptr 0
		.amdhsa_user_sgpr_kernarg_segment_ptr 1
		.amdhsa_user_sgpr_dispatch_id 0
		.amdhsa_user_sgpr_private_segment_size 0
		.amdhsa_wavefront_size32 1
		.amdhsa_uses_dynamic_stack 0
		.amdhsa_enable_private_segment 0
		.amdhsa_system_sgpr_workgroup_id_x 1
		.amdhsa_system_sgpr_workgroup_id_y 0
		.amdhsa_system_sgpr_workgroup_id_z 0
		.amdhsa_system_sgpr_workgroup_info 0
		.amdhsa_system_vgpr_workitem_id 0
		.amdhsa_next_free_vgpr 29
		.amdhsa_next_free_sgpr 20
		.amdhsa_reserve_vcc 1
		.amdhsa_float_round_mode_32 0
		.amdhsa_float_round_mode_16_64 0
		.amdhsa_float_denorm_mode_32 3
		.amdhsa_float_denorm_mode_16_64 3
		.amdhsa_dx10_clamp 1
		.amdhsa_ieee_mode 1
		.amdhsa_fp16_overflow 0
		.amdhsa_workgroup_processor_mode 1
		.amdhsa_memory_ordered 1
		.amdhsa_forward_progress 0
		.amdhsa_shared_vgpr_count 0
		.amdhsa_exception_fp_ieee_invalid_op 0
		.amdhsa_exception_fp_denorm_src 0
		.amdhsa_exception_fp_ieee_div_zero 0
		.amdhsa_exception_fp_ieee_overflow 0
		.amdhsa_exception_fp_ieee_underflow 0
		.amdhsa_exception_fp_ieee_inexact 0
		.amdhsa_exception_int_div_zero 0
	.end_amdhsa_kernel
	.section	.text._ZN4vllm15rms_norm_kernelIN3c104HalfELi16ELi2EEEvPT_PKS3_lllllS6_fii,"axG",@progbits,_ZN4vllm15rms_norm_kernelIN3c104HalfELi16ELi2EEEvPT_PKS3_lllllS6_fii,comdat
.Lfunc_end5:
	.size	_ZN4vllm15rms_norm_kernelIN3c104HalfELi16ELi2EEEvPT_PKS3_lllllS6_fii, .Lfunc_end5-_ZN4vllm15rms_norm_kernelIN3c104HalfELi16ELi2EEEvPT_PKS3_lllllS6_fii
                                        ; -- End function
	.section	.AMDGPU.csdata,"",@progbits
; Kernel info:
; codeLenInByte = 2344
; NumSgprs: 22
; NumVgprs: 29
; ScratchSize: 0
; MemoryBound: 0
; FloatMode: 240
; IeeeMode: 1
; LDSByteSize: 132 bytes/workgroup (compile time only)
; SGPRBlocks: 2
; VGPRBlocks: 3
; NumSGPRsForWavesPerEU: 22
; NumVGPRsForWavesPerEU: 29
; Occupancy: 16
; WaveLimiterHint : 0
; COMPUTE_PGM_RSRC2:SCRATCH_EN: 0
; COMPUTE_PGM_RSRC2:USER_SGPR: 15
; COMPUTE_PGM_RSRC2:TRAP_HANDLER: 0
; COMPUTE_PGM_RSRC2:TGID_X_EN: 1
; COMPUTE_PGM_RSRC2:TGID_Y_EN: 0
; COMPUTE_PGM_RSRC2:TGID_Z_EN: 0
; COMPUTE_PGM_RSRC2:TIDIG_COMP_CNT: 0
	.section	.text._ZN4vllm15rms_norm_kernelIN3c104HalfELi8ELi2EEEvPT_PKS3_lllllS6_fii,"axG",@progbits,_ZN4vllm15rms_norm_kernelIN3c104HalfELi8ELi2EEEvPT_PKS3_lllllS6_fii,comdat
	.protected	_ZN4vllm15rms_norm_kernelIN3c104HalfELi8ELi2EEEvPT_PKS3_lllllS6_fii ; -- Begin function _ZN4vllm15rms_norm_kernelIN3c104HalfELi8ELi2EEEvPT_PKS3_lllllS6_fii
	.globl	_ZN4vllm15rms_norm_kernelIN3c104HalfELi8ELi2EEEvPT_PKS3_lllllS6_fii
	.p2align	8
	.type	_ZN4vllm15rms_norm_kernelIN3c104HalfELi8ELi2EEEvPT_PKS3_lllllS6_fii,@function
_ZN4vllm15rms_norm_kernelIN3c104HalfELi8ELi2EEEvPT_PKS3_lllllS6_fii: ; @_ZN4vllm15rms_norm_kernelIN3c104HalfELi8ELi2EEEvPT_PKS3_lllllS6_fii
; %bb.0:
	s_clause 0x2
	s_load_b128 s[4:7], s[0:1], 0x8
	s_load_b32 s2, s[0:1], 0x5c
	s_load_b32 s3, s[0:1], 0x48
	s_mov_b32 s9, 0
	s_waitcnt lgkmcnt(0)
	s_mul_i32 s7, s15, s7
	s_mul_hi_u32 s8, s15, s6
	s_mul_i32 s6, s15, s6
	s_add_i32 s7, s8, s7
	s_delay_alu instid0(SALU_CYCLE_1) | instskip(NEXT) | instid1(SALU_CYCLE_1)
	s_lshl_b64 s[6:7], s[6:7], 1
	s_add_u32 s10, s4, s6
	s_addc_u32 s11, s5, s7
	s_and_b32 s8, s10, 15
	s_and_b32 s12, s2, 0xffff
	s_cmp_lg_u64 s[8:9], 0
	s_cselect_b32 s2, -1, 0
	s_and_b32 s8, s3, 7
	s_delay_alu instid0(SALU_CYCLE_1) | instskip(SKIP_1) | instid1(SALU_CYCLE_1)
	s_cmp_lg_u32 s8, 0
	s_cselect_b32 s8, -1, 0
	s_or_b32 s2, s2, s8
	s_delay_alu instid0(SALU_CYCLE_1)
	s_and_b32 vcc_lo, exec_lo, s2
	s_cbranch_vccz .LBB6_14
; %bb.1:
	s_sub_i32 s2, 0, s10
	v_mov_b32_e32 v4, 0
	s_bfe_u32 s2, s2, 0x30001
	s_mov_b32 s9, exec_lo
	s_min_i32 s8, s2, s3
	s_delay_alu instid0(SALU_CYCLE_1)
	v_cmpx_gt_i32_e64 s8, v0
	s_cbranch_execz .LBB6_5
; %bb.2:
	v_dual_mov_b32 v4, 0 :: v_dual_lshlrev_b32 v1, 1, v0
	s_add_u32 s2, s4, s6
	s_addc_u32 s13, s5, s7
	v_mov_b32_e32 v3, v0
	s_delay_alu instid0(VALU_DEP_2) | instskip(NEXT) | instid1(VALU_DEP_1)
	v_add_co_u32 v1, s2, s2, v1
	v_add_co_ci_u32_e64 v2, null, s13, 0, s2
	s_mov_b32 s13, 0
	s_lshl_b32 s14, s12, 1
.LBB6_3:                                ; =>This Inner Loop Header: Depth=1
	global_load_u16 v5, v[1:2], off
	v_add_nc_u32_e32 v3, s12, v3
	v_add_co_u32 v1, vcc_lo, v1, s14
	v_add_co_ci_u32_e32 v2, vcc_lo, 0, v2, vcc_lo
	s_delay_alu instid0(VALU_DEP_3) | instskip(NEXT) | instid1(VALU_DEP_1)
	v_cmp_le_i32_e64 s2, s8, v3
	s_or_b32 s13, s2, s13
	s_waitcnt vmcnt(0)
	v_fma_mix_f32 v4, v5, v5, v4 op_sel_hi:[1,1,0]
	s_and_not1_b32 exec_lo, exec_lo, s13
	s_cbranch_execnz .LBB6_3
; %bb.4:
	s_or_b32 exec_lo, exec_lo, s13
.LBB6_5:
	s_delay_alu instid0(SALU_CYCLE_1)
	s_or_b32 exec_lo, exec_lo, s9
	s_sub_i32 s13, s3, s8
	s_ashr_i32 s9, s8, 31
	s_ashr_i32 s2, s13, 31
	s_mov_b32 s16, exec_lo
	s_lshr_b32 s2, s2, 29
	s_delay_alu instid0(SALU_CYCLE_1) | instskip(NEXT) | instid1(SALU_CYCLE_1)
	s_add_i32 s2, s13, s2
	s_ashr_i32 s14, s2, 3
	s_delay_alu instid0(SALU_CYCLE_1)
	v_cmpx_gt_i32_e64 s14, v0
	s_cbranch_execz .LBB6_9
; %bb.6:
	s_lshl_b64 s[18:19], s[8:9], 1
	v_lshlrev_b32_e32 v1, 4, v0
	s_add_u32 s2, s4, s18
	s_addc_u32 s17, s5, s19
	s_add_u32 s2, s2, s6
	s_addc_u32 s17, s17, s7
	v_add_co_u32 v1, s2, s2, v1
	s_delay_alu instid0(VALU_DEP_1)
	v_add_co_ci_u32_e64 v2, null, s17, 0, s2
	v_mov_b32_e32 v3, v0
	s_mov_b32 s17, 0
	s_lshl_b32 s18, s12, 4
	.p2align	6
.LBB6_7:                                ; =>This Inner Loop Header: Depth=1
	global_load_b128 v[5:8], v[1:2], off
	v_add_nc_u32_e32 v3, s12, v3
	v_add_co_u32 v1, vcc_lo, v1, s18
	v_add_co_ci_u32_e32 v2, vcc_lo, 0, v2, vcc_lo
	s_delay_alu instid0(VALU_DEP_3) | instskip(NEXT) | instid1(VALU_DEP_1)
	v_cmp_le_i32_e64 s2, s14, v3
	s_or_b32 s17, s2, s17
	s_waitcnt vmcnt(0)
	v_fma_mix_f32 v4, v5, v5, v4 op_sel_hi:[1,1,0]
	s_delay_alu instid0(VALU_DEP_1) | instskip(NEXT) | instid1(VALU_DEP_1)
	v_fma_mix_f32 v4, v5, v5, v4 op_sel:[1,1,0] op_sel_hi:[1,1,0]
	v_fma_mix_f32 v4, v6, v6, v4 op_sel_hi:[1,1,0]
	s_delay_alu instid0(VALU_DEP_1) | instskip(NEXT) | instid1(VALU_DEP_1)
	v_fma_mix_f32 v4, v6, v6, v4 op_sel:[1,1,0] op_sel_hi:[1,1,0]
	;; [unrolled: 3-line block ×3, first 2 shown]
	v_fma_mix_f32 v4, v8, v8, v4 op_sel_hi:[1,1,0]
	s_delay_alu instid0(VALU_DEP_1)
	v_fma_mix_f32 v4, v8, v8, v4 op_sel:[1,1,0] op_sel_hi:[1,1,0]
	s_and_not1_b32 exec_lo, exec_lo, s17
	s_cbranch_execnz .LBB6_7
; %bb.8:
	s_or_b32 exec_lo, exec_lo, s17
.LBB6_9:
	s_delay_alu instid0(SALU_CYCLE_1) | instskip(SKIP_2) | instid1(VALU_DEP_1)
	s_or_b32 exec_lo, exec_lo, s16
	v_lshl_add_u32 v1, s14, 3, v0
	s_mov_b32 s14, exec_lo
	v_cmpx_gt_i32_e64 s13, v1
	s_cbranch_execz .LBB6_13
; %bb.10:
	v_ashrrev_i32_e32 v2, 31, v1
	s_lshl_b64 s[8:9], s[8:9], 1
	s_delay_alu instid0(SALU_CYCLE_1) | instskip(SKIP_1) | instid1(VALU_DEP_1)
	s_add_u32 s2, s6, s8
	s_addc_u32 s8, s7, s9
	v_lshlrev_b64 v[2:3], 1, v[1:2]
	s_add_u32 s2, s4, s2
	s_addc_u32 s8, s5, s8
	s_lshl_b32 s9, s12, 1
	s_delay_alu instid0(VALU_DEP_1) | instskip(NEXT) | instid1(VALU_DEP_2)
	v_add_co_u32 v2, vcc_lo, s2, v2
	v_add_co_ci_u32_e32 v3, vcc_lo, s8, v3, vcc_lo
	s_mov_b32 s8, 0
.LBB6_11:                               ; =>This Inner Loop Header: Depth=1
	global_load_u16 v5, v[2:3], off
	v_add_nc_u32_e32 v1, s12, v1
	v_add_co_u32 v2, vcc_lo, v2, s9
	v_add_co_ci_u32_e32 v3, vcc_lo, 0, v3, vcc_lo
	s_delay_alu instid0(VALU_DEP_3) | instskip(NEXT) | instid1(VALU_DEP_1)
	v_cmp_le_i32_e64 s2, s13, v1
	s_or_b32 s8, s2, s8
	s_waitcnt vmcnt(0)
	v_fma_mix_f32 v4, v5, v5, v4 op_sel_hi:[1,1,0]
	s_and_not1_b32 exec_lo, exec_lo, s8
	s_cbranch_execnz .LBB6_11
; %bb.12:
	s_or_b32 exec_lo, exec_lo, s8
.LBB6_13:
	s_delay_alu instid0(SALU_CYCLE_1)
	s_or_b32 exec_lo, exec_lo, s14
	s_branch .LBB6_20
.LBB6_14:
                                        ; implicit-def: $vgpr4
	s_cbranch_execz .LBB6_20
; %bb.15:
	v_mov_b32_e32 v4, 0
	s_ashr_i32 s9, s3, 3
	s_mov_b32 s8, exec_lo
	v_cmpx_gt_i32_e64 s9, v0
	s_cbranch_execz .LBB6_19
; %bb.16:
	v_dual_mov_b32 v4, 0 :: v_dual_lshlrev_b32 v1, 4, v0
	s_add_u32 s2, s4, s6
	s_addc_u32 s4, s5, s7
	v_mov_b32_e32 v3, v0
	s_delay_alu instid0(VALU_DEP_2) | instskip(NEXT) | instid1(VALU_DEP_1)
	v_add_co_u32 v1, s2, s2, v1
	v_add_co_ci_u32_e64 v2, null, s4, 0, s2
	s_mov_b32 s4, 0
	s_lshl_b32 s5, s12, 4
	.p2align	6
.LBB6_17:                               ; =>This Inner Loop Header: Depth=1
	global_load_b128 v[5:8], v[1:2], off
	v_add_nc_u32_e32 v3, s12, v3
	v_add_co_u32 v1, vcc_lo, v1, s5
	v_add_co_ci_u32_e32 v2, vcc_lo, 0, v2, vcc_lo
	s_delay_alu instid0(VALU_DEP_3) | instskip(NEXT) | instid1(VALU_DEP_1)
	v_cmp_le_i32_e64 s2, s9, v3
	s_or_b32 s4, s2, s4
	s_waitcnt vmcnt(0)
	v_fma_mix_f32 v4, v5, v5, v4 op_sel_hi:[1,1,0]
	s_delay_alu instid0(VALU_DEP_1) | instskip(NEXT) | instid1(VALU_DEP_1)
	v_fma_mix_f32 v4, v5, v5, v4 op_sel:[1,1,0] op_sel_hi:[1,1,0]
	v_fma_mix_f32 v4, v6, v6, v4 op_sel_hi:[1,1,0]
	s_delay_alu instid0(VALU_DEP_1) | instskip(NEXT) | instid1(VALU_DEP_1)
	v_fma_mix_f32 v4, v6, v6, v4 op_sel:[1,1,0] op_sel_hi:[1,1,0]
	;; [unrolled: 3-line block ×3, first 2 shown]
	v_fma_mix_f32 v4, v8, v8, v4 op_sel_hi:[1,1,0]
	s_delay_alu instid0(VALU_DEP_1)
	v_fma_mix_f32 v4, v8, v8, v4 op_sel:[1,1,0] op_sel_hi:[1,1,0]
	s_and_not1_b32 exec_lo, exec_lo, s4
	s_cbranch_execnz .LBB6_17
; %bb.18:
	s_or_b32 exec_lo, exec_lo, s4
.LBB6_19:
	s_delay_alu instid0(SALU_CYCLE_1)
	s_or_b32 exec_lo, exec_lo, s8
.LBB6_20:
	v_mbcnt_lo_u32_b32 v1, -1, 0
	v_and_b32_e32 v3, 0x3e0, v0
	s_mov_b32 s2, exec_lo
	s_delay_alu instid0(VALU_DEP_2) | instskip(NEXT) | instid1(VALU_DEP_2)
	v_cmp_ne_u32_e32 vcc_lo, 31, v1
	v_sub_nc_u32_e64 v12, s12, v3 clamp
	v_add_nc_u32_e32 v3, 1, v1
	v_add_co_ci_u32_e32 v2, vcc_lo, 0, v1, vcc_lo
	v_cmp_gt_u32_e32 vcc_lo, 30, v1
	s_delay_alu instid0(VALU_DEP_2)
	v_lshlrev_b32_e32 v2, 2, v2
	v_cndmask_b32_e64 v6, 0, 1, vcc_lo
	v_cmp_lt_u32_e32 vcc_lo, v3, v12
	ds_bpermute_b32 v5, v2, v4
	s_waitcnt lgkmcnt(0)
	v_dual_add_f32 v7, v4, v5 :: v_dual_lshlrev_b32 v6, 1, v6
	s_delay_alu instid0(VALU_DEP_1) | instskip(NEXT) | instid1(VALU_DEP_2)
	v_cndmask_b32_e32 v7, v4, v7, vcc_lo
	v_add_lshl_u32 v5, v6, v1, 2
	v_cmp_gt_u32_e32 vcc_lo, 28, v1
	ds_bpermute_b32 v6, v5, v7
	v_cndmask_b32_e64 v4, 0, 1, vcc_lo
	s_delay_alu instid0(VALU_DEP_1) | instskip(SKIP_1) | instid1(VALU_DEP_1)
	v_lshlrev_b32_e32 v8, 2, v4
	v_add_nc_u32_e32 v4, 2, v1
	v_cmp_lt_u32_e32 vcc_lo, v4, v12
	s_waitcnt lgkmcnt(0)
	v_add_f32_e32 v9, v7, v6
	v_add_lshl_u32 v6, v8, v1, 2
	s_delay_alu instid0(VALU_DEP_2) | instskip(SKIP_2) | instid1(VALU_DEP_1)
	v_cndmask_b32_e32 v9, v7, v9, vcc_lo
	v_cmp_gt_u32_e32 vcc_lo, 24, v1
	v_cndmask_b32_e64 v7, 0, 1, vcc_lo
	v_lshlrev_b32_e32 v10, 3, v7
	ds_bpermute_b32 v8, v6, v9
	v_add_nc_u32_e32 v7, 4, v1
	s_delay_alu instid0(VALU_DEP_1) | instskip(SKIP_3) | instid1(VALU_DEP_2)
	v_cmp_lt_u32_e32 vcc_lo, v7, v12
	s_waitcnt lgkmcnt(0)
	v_add_f32_e32 v11, v9, v8
	v_add_lshl_u32 v8, v10, v1, 2
	v_cndmask_b32_e32 v11, v9, v11, vcc_lo
	v_cmp_gt_u32_e32 vcc_lo, 16, v1
	ds_bpermute_b32 v10, v8, v11
	v_cndmask_b32_e64 v9, 0, 1, vcc_lo
	s_delay_alu instid0(VALU_DEP_1) | instskip(SKIP_1) | instid1(VALU_DEP_1)
	v_lshlrev_b32_e32 v13, 4, v9
	v_add_nc_u32_e32 v9, 8, v1
	v_cmp_lt_u32_e32 vcc_lo, v9, v12
	s_waitcnt lgkmcnt(0)
	v_add_f32_e32 v14, v11, v10
	v_add_lshl_u32 v10, v13, v1, 2
	s_delay_alu instid0(VALU_DEP_2)
	v_cndmask_b32_e32 v13, v11, v14, vcc_lo
	v_add_nc_u32_e32 v11, 16, v1
	ds_bpermute_b32 v14, v10, v13
	v_cmp_lt_u32_e32 vcc_lo, v11, v12
	s_waitcnt lgkmcnt(0)
	v_add_f32_e32 v14, v13, v14
	s_delay_alu instid0(VALU_DEP_1)
	v_cndmask_b32_e32 v12, v13, v14, vcc_lo
	v_cmpx_eq_u32_e32 0, v1
	s_cbranch_execz .LBB6_22
; %bb.21:
	v_lshrrev_b32_e32 v13, 3, v0
	s_delay_alu instid0(VALU_DEP_1)
	v_and_b32_e32 v13, 0x7c, v13
	ds_store_b32 v13, v12
.LBB6_22:
	s_or_b32 exec_lo, exec_lo, s2
	s_delay_alu instid0(SALU_CYCLE_1)
	s_mov_b32 s2, exec_lo
	s_waitcnt lgkmcnt(0)
	s_barrier
	buffer_gl0_inv
	v_cmpx_gt_u32_e32 32, v0
	s_cbranch_execz .LBB6_24
; %bb.23:
	v_lshlrev_b32_e32 v1, 2, v1
	s_add_i32 s4, s12, 31
	s_delay_alu instid0(SALU_CYCLE_1) | instskip(NEXT) | instid1(SALU_CYCLE_1)
	s_lshr_b32 s4, s4, 5
	v_cmp_gt_u32_e32 vcc_lo, s4, v3
	ds_load_b32 v1, v1
	s_waitcnt lgkmcnt(0)
	ds_bpermute_b32 v2, v2, v1
	s_waitcnt lgkmcnt(0)
	v_add_f32_e32 v2, v1, v2
	s_delay_alu instid0(VALU_DEP_1) | instskip(SKIP_4) | instid1(VALU_DEP_1)
	v_cndmask_b32_e32 v1, v1, v2, vcc_lo
	v_cmp_gt_u32_e32 vcc_lo, s4, v4
	ds_bpermute_b32 v2, v5, v1
	s_waitcnt lgkmcnt(0)
	v_add_f32_e32 v2, v1, v2
	v_cndmask_b32_e32 v1, v1, v2, vcc_lo
	v_cmp_gt_u32_e32 vcc_lo, s4, v7
	ds_bpermute_b32 v2, v6, v1
	s_waitcnt lgkmcnt(0)
	v_add_f32_e32 v2, v1, v2
	s_delay_alu instid0(VALU_DEP_1) | instskip(SKIP_4) | instid1(VALU_DEP_1)
	v_cndmask_b32_e32 v1, v1, v2, vcc_lo
	v_cmp_gt_u32_e32 vcc_lo, s4, v9
	ds_bpermute_b32 v2, v8, v1
	s_waitcnt lgkmcnt(0)
	v_add_f32_e32 v2, v1, v2
	v_cndmask_b32_e32 v1, v1, v2, vcc_lo
	v_cmp_gt_u32_e32 vcc_lo, s4, v11
	ds_bpermute_b32 v2, v10, v1
	s_waitcnt lgkmcnt(0)
	v_add_f32_e32 v2, v1, v2
	s_delay_alu instid0(VALU_DEP_1)
	v_cndmask_b32_e32 v12, v1, v2, vcc_lo
.LBB6_24:
	s_or_b32 exec_lo, exec_lo, s2
	s_delay_alu instid0(SALU_CYCLE_1)
	s_mov_b32 s2, exec_lo
	v_cmpx_eq_u32_e32 0, v0
	s_cbranch_execz .LBB6_26
; %bb.25:
	v_cvt_f32_i32_e32 v1, s3
	s_load_b32 s4, s[0:1], 0x40
	s_delay_alu instid0(VALU_DEP_1) | instskip(SKIP_1) | instid1(VALU_DEP_2)
	v_div_scale_f32 v2, null, v1, v1, v12
	v_div_scale_f32 v5, vcc_lo, v12, v1, v12
	v_rcp_f32_e32 v3, v2
	s_waitcnt_depctr 0xfff
	v_fma_f32 v4, -v2, v3, 1.0
	s_delay_alu instid0(VALU_DEP_1) | instskip(NEXT) | instid1(VALU_DEP_1)
	v_fmac_f32_e32 v3, v4, v3
	v_mul_f32_e32 v4, v5, v3
	s_delay_alu instid0(VALU_DEP_1) | instskip(NEXT) | instid1(VALU_DEP_1)
	v_fma_f32 v6, -v2, v4, v5
	v_fmac_f32_e32 v4, v6, v3
	s_delay_alu instid0(VALU_DEP_1) | instskip(NEXT) | instid1(VALU_DEP_1)
	v_fma_f32 v2, -v2, v4, v5
	v_div_fmas_f32 v2, v2, v3, v4
	s_delay_alu instid0(VALU_DEP_1) | instskip(SKIP_1) | instid1(VALU_DEP_1)
	v_div_fixup_f32 v1, v2, v1, v12
	s_waitcnt lgkmcnt(0)
	v_add_f32_e32 v1, s4, v1
	s_delay_alu instid0(VALU_DEP_1) | instskip(SKIP_1) | instid1(VALU_DEP_2)
	v_mul_f32_e32 v2, 0x4b800000, v1
	v_cmp_gt_f32_e32 vcc_lo, 0x800000, v1
	v_cndmask_b32_e32 v1, v1, v2, vcc_lo
	s_delay_alu instid0(VALU_DEP_1) | instskip(SKIP_2) | instid1(VALU_DEP_1)
	v_rsq_f32_e32 v1, v1
	s_waitcnt_depctr 0xfff
	v_mul_f32_e32 v2, 0x45800000, v1
	v_dual_cndmask_b32 v1, v1, v2 :: v_dual_mov_b32 v2, 0
	ds_store_b32 v2, v1 offset:128
.LBB6_26:
	s_or_b32 exec_lo, exec_lo, s2
	s_ashr_i32 s2, s3, 31
	s_waitcnt lgkmcnt(0)
	s_lshr_b32 s2, s2, 29
	s_barrier
	s_add_i32 s2, s3, s2
	buffer_gl0_inv
	s_ashr_i32 s4, s2, 3
	s_mov_b32 s2, exec_lo
	v_cmpx_gt_i32_e64 s4, v0
	s_cbranch_execz .LBB6_29
; %bb.27:
	v_dual_mov_b32 v1, 0 :: v_dual_lshlrev_b32 v2, 4, v0
	s_clause 0x1
	s_load_b64 s[6:7], s[0:1], 0x0
	s_load_b64 s[0:1], s[0:1], 0x38
	s_mul_i32 s2, s15, s3
	s_mov_b32 s3, 0
	ds_load_b32 v1, v1 offset:128
	s_lshl_b64 s[8:9], s[2:3], 1
	s_waitcnt lgkmcnt(0)
	s_add_u32 s2, s6, s8
	s_addc_u32 s5, s7, s9
	s_lshl_b32 s6, s12, 4
.LBB6_28:                               ; =>This Inner Loop Header: Depth=1
	v_add_co_u32 v3, s7, s10, v2
	s_delay_alu instid0(VALU_DEP_1) | instskip(SKIP_1) | instid1(VALU_DEP_1)
	v_add_co_ci_u32_e64 v4, null, s11, 0, s7
	v_add_co_u32 v7, s7, s0, v2
	v_add_co_ci_u32_e64 v8, null, s1, 0, s7
	global_load_b128 v[3:6], v[3:4], off
	v_add_nc_u32_e32 v0, s12, v0
	v_add_co_u32 v11, s7, s2, v2
	global_load_b128 v[7:10], v[7:8], off
	s_add_u32 s2, s2, s6
	v_add_co_ci_u32_e64 v12, null, s5, 0, s7
	s_addc_u32 s5, s5, 0
	v_cmp_le_i32_e32 vcc_lo, s4, v0
	s_add_u32 s10, s10, s6
	s_addc_u32 s11, s11, 0
	s_add_u32 s0, s0, s6
	s_addc_u32 s1, s1, 0
	s_or_b32 s3, vcc_lo, s3
	s_waitcnt vmcnt(1)
	v_fma_mixlo_f16 v13, v1, v3, 0 op_sel_hi:[0,1,0]
	v_fma_mixlo_f16 v14, v1, v4, 0 op_sel_hi:[0,1,0]
	;; [unrolled: 1-line block ×4, first 2 shown]
	s_delay_alu instid0(VALU_DEP_4) | instskip(NEXT) | instid1(VALU_DEP_4)
	v_fma_mixhi_f16 v13, v1, v3, 0 op_sel:[0,1,0] op_sel_hi:[0,1,0]
	v_fma_mixhi_f16 v14, v1, v4, 0 op_sel:[0,1,0] op_sel_hi:[0,1,0]
	s_delay_alu instid0(VALU_DEP_4) | instskip(NEXT) | instid1(VALU_DEP_4)
	v_fma_mixhi_f16 v15, v1, v5, 0 op_sel:[0,1,0] op_sel_hi:[0,1,0]
	v_fma_mixhi_f16 v16, v1, v6, 0 op_sel:[0,1,0] op_sel_hi:[0,1,0]
	s_waitcnt vmcnt(0)
	v_pk_mul_f16 v3, v7, v13
	v_pk_mul_f16 v4, v8, v14
	;; [unrolled: 1-line block ×4, first 2 shown]
	global_store_b128 v[11:12], v[3:6], off
	s_and_not1_b32 exec_lo, exec_lo, s3
	s_cbranch_execnz .LBB6_28
.LBB6_29:
	s_nop 0
	s_sendmsg sendmsg(MSG_DEALLOC_VGPRS)
	s_endpgm
	.section	.rodata,"a",@progbits
	.p2align	6, 0x0
	.amdhsa_kernel _ZN4vllm15rms_norm_kernelIN3c104HalfELi8ELi2EEEvPT_PKS3_lllllS6_fii
		.amdhsa_group_segment_fixed_size 132
		.amdhsa_private_segment_fixed_size 0
		.amdhsa_kernarg_size 336
		.amdhsa_user_sgpr_count 15
		.amdhsa_user_sgpr_dispatch_ptr 0
		.amdhsa_user_sgpr_queue_ptr 0
		.amdhsa_user_sgpr_kernarg_segment_ptr 1
		.amdhsa_user_sgpr_dispatch_id 0
		.amdhsa_user_sgpr_private_segment_size 0
		.amdhsa_wavefront_size32 1
		.amdhsa_uses_dynamic_stack 0
		.amdhsa_enable_private_segment 0
		.amdhsa_system_sgpr_workgroup_id_x 1
		.amdhsa_system_sgpr_workgroup_id_y 0
		.amdhsa_system_sgpr_workgroup_id_z 0
		.amdhsa_system_sgpr_workgroup_info 0
		.amdhsa_system_vgpr_workitem_id 0
		.amdhsa_next_free_vgpr 17
		.amdhsa_next_free_sgpr 20
		.amdhsa_reserve_vcc 1
		.amdhsa_float_round_mode_32 0
		.amdhsa_float_round_mode_16_64 0
		.amdhsa_float_denorm_mode_32 3
		.amdhsa_float_denorm_mode_16_64 3
		.amdhsa_dx10_clamp 1
		.amdhsa_ieee_mode 1
		.amdhsa_fp16_overflow 0
		.amdhsa_workgroup_processor_mode 1
		.amdhsa_memory_ordered 1
		.amdhsa_forward_progress 0
		.amdhsa_shared_vgpr_count 0
		.amdhsa_exception_fp_ieee_invalid_op 0
		.amdhsa_exception_fp_denorm_src 0
		.amdhsa_exception_fp_ieee_div_zero 0
		.amdhsa_exception_fp_ieee_overflow 0
		.amdhsa_exception_fp_ieee_underflow 0
		.amdhsa_exception_fp_ieee_inexact 0
		.amdhsa_exception_int_div_zero 0
	.end_amdhsa_kernel
	.section	.text._ZN4vllm15rms_norm_kernelIN3c104HalfELi8ELi2EEEvPT_PKS3_lllllS6_fii,"axG",@progbits,_ZN4vllm15rms_norm_kernelIN3c104HalfELi8ELi2EEEvPT_PKS3_lllllS6_fii,comdat
.Lfunc_end6:
	.size	_ZN4vllm15rms_norm_kernelIN3c104HalfELi8ELi2EEEvPT_PKS3_lllllS6_fii, .Lfunc_end6-_ZN4vllm15rms_norm_kernelIN3c104HalfELi8ELi2EEEvPT_PKS3_lllllS6_fii
                                        ; -- End function
	.section	.AMDGPU.csdata,"",@progbits
; Kernel info:
; codeLenInByte = 2004
; NumSgprs: 22
; NumVgprs: 17
; ScratchSize: 0
; MemoryBound: 0
; FloatMode: 240
; IeeeMode: 1
; LDSByteSize: 132 bytes/workgroup (compile time only)
; SGPRBlocks: 2
; VGPRBlocks: 2
; NumSGPRsForWavesPerEU: 22
; NumVGPRsForWavesPerEU: 17
; Occupancy: 16
; WaveLimiterHint : 0
; COMPUTE_PGM_RSRC2:SCRATCH_EN: 0
; COMPUTE_PGM_RSRC2:USER_SGPR: 15
; COMPUTE_PGM_RSRC2:TRAP_HANDLER: 0
; COMPUTE_PGM_RSRC2:TGID_X_EN: 1
; COMPUTE_PGM_RSRC2:TGID_Y_EN: 0
; COMPUTE_PGM_RSRC2:TGID_Z_EN: 0
; COMPUTE_PGM_RSRC2:TIDIG_COMP_CNT: 0
	.section	.text._ZN4vllm15rms_norm_kernelIN3c104HalfELi4ELi2EEEvPT_PKS3_lllllS6_fii,"axG",@progbits,_ZN4vllm15rms_norm_kernelIN3c104HalfELi4ELi2EEEvPT_PKS3_lllllS6_fii,comdat
	.protected	_ZN4vllm15rms_norm_kernelIN3c104HalfELi4ELi2EEEvPT_PKS3_lllllS6_fii ; -- Begin function _ZN4vllm15rms_norm_kernelIN3c104HalfELi4ELi2EEEvPT_PKS3_lllllS6_fii
	.globl	_ZN4vllm15rms_norm_kernelIN3c104HalfELi4ELi2EEEvPT_PKS3_lllllS6_fii
	.p2align	8
	.type	_ZN4vllm15rms_norm_kernelIN3c104HalfELi4ELi2EEEvPT_PKS3_lllllS6_fii,@function
_ZN4vllm15rms_norm_kernelIN3c104HalfELi4ELi2EEEvPT_PKS3_lllllS6_fii: ; @_ZN4vllm15rms_norm_kernelIN3c104HalfELi4ELi2EEEvPT_PKS3_lllllS6_fii
; %bb.0:
	s_clause 0x2
	s_load_b128 s[4:7], s[0:1], 0x8
	s_load_b32 s11, s[0:1], 0x5c
	s_load_b32 s10, s[0:1], 0x48
	s_mov_b32 s9, 0
	s_waitcnt lgkmcnt(0)
	s_mul_i32 s3, s15, s7
	s_mul_hi_u32 s7, s15, s6
	s_mul_i32 s2, s15, s6
	s_add_i32 s3, s7, s3
	s_delay_alu instid0(SALU_CYCLE_1) | instskip(SKIP_2) | instid1(SALU_CYCLE_1)
	s_lshl_b64 s[6:7], s[2:3], 1
	s_and_b32 s3, s11, 0xffff
	s_add_u32 s2, s4, s6
	s_and_b32 s8, s2, 7
	s_delay_alu instid0(SALU_CYCLE_1) | instskip(SKIP_2) | instid1(SALU_CYCLE_1)
	s_cmp_lg_u64 s[8:9], 0
	s_cselect_b32 s8, -1, 0
	s_and_b32 s9, s10, 3
	s_cmp_lg_u32 s9, 0
	s_cselect_b32 s9, -1, 0
	s_delay_alu instid0(SALU_CYCLE_1) | instskip(NEXT) | instid1(SALU_CYCLE_1)
	s_or_b32 s8, s8, s9
	s_and_b32 vcc_lo, exec_lo, s8
	s_cbranch_vccz .LBB7_14
; %bb.1:
	s_sub_i32 s2, 0, s2
	v_mov_b32_e32 v4, 0
	s_bfe_u32 s2, s2, 0x20001
	s_mov_b32 s9, exec_lo
	s_min_i32 s8, s2, s10
	s_delay_alu instid0(SALU_CYCLE_1)
	v_cmpx_gt_i32_e64 s8, v0
	s_cbranch_execz .LBB7_5
; %bb.2:
	v_dual_mov_b32 v4, 0 :: v_dual_lshlrev_b32 v1, 1, v0
	s_add_u32 s2, s4, s6
	s_addc_u32 s11, s5, s7
	v_mov_b32_e32 v3, v0
	s_delay_alu instid0(VALU_DEP_2) | instskip(NEXT) | instid1(VALU_DEP_1)
	v_add_co_u32 v1, s2, s2, v1
	v_add_co_ci_u32_e64 v2, null, s11, 0, s2
	s_mov_b32 s11, 0
	s_lshl_b32 s12, s3, 1
.LBB7_3:                                ; =>This Inner Loop Header: Depth=1
	global_load_u16 v5, v[1:2], off
	v_add_nc_u32_e32 v3, s3, v3
	v_add_co_u32 v1, vcc_lo, v1, s12
	v_add_co_ci_u32_e32 v2, vcc_lo, 0, v2, vcc_lo
	s_delay_alu instid0(VALU_DEP_3) | instskip(NEXT) | instid1(VALU_DEP_1)
	v_cmp_le_i32_e64 s2, s8, v3
	s_or_b32 s11, s2, s11
	s_waitcnt vmcnt(0)
	v_fma_mix_f32 v4, v5, v5, v4 op_sel_hi:[1,1,0]
	s_and_not1_b32 exec_lo, exec_lo, s11
	s_cbranch_execnz .LBB7_3
; %bb.4:
	s_or_b32 exec_lo, exec_lo, s11
.LBB7_5:
	s_delay_alu instid0(SALU_CYCLE_1)
	s_or_b32 exec_lo, exec_lo, s9
	s_sub_i32 s11, s10, s8
	s_ashr_i32 s9, s8, 31
	s_ashr_i32 s2, s11, 31
	s_mov_b32 s13, exec_lo
	s_lshr_b32 s2, s2, 30
	s_delay_alu instid0(SALU_CYCLE_1) | instskip(NEXT) | instid1(SALU_CYCLE_1)
	s_add_i32 s2, s11, s2
	s_ashr_i32 s12, s2, 2
	s_delay_alu instid0(SALU_CYCLE_1)
	v_cmpx_gt_i32_e64 s12, v0
	s_cbranch_execz .LBB7_9
; %bb.6:
	s_lshl_b64 s[16:17], s[8:9], 1
	v_lshlrev_b32_e32 v1, 3, v0
	s_add_u32 s2, s4, s16
	s_addc_u32 s14, s5, s17
	s_add_u32 s2, s2, s6
	s_addc_u32 s14, s14, s7
	v_add_co_u32 v1, s2, s2, v1
	s_delay_alu instid0(VALU_DEP_1) | instskip(SKIP_1) | instid1(VALU_DEP_3)
	v_add_co_ci_u32_e64 v2, null, s14, 0, s2
	v_mov_b32_e32 v3, v0
	v_add_co_u32 v1, vcc_lo, v1, 4
	s_delay_alu instid0(VALU_DEP_3)
	v_add_co_ci_u32_e32 v2, vcc_lo, 0, v2, vcc_lo
	s_mov_b32 s14, 0
	s_lshl_b32 s16, s3, 3
	.p2align	6
.LBB7_7:                                ; =>This Inner Loop Header: Depth=1
	global_load_b64 v[5:6], v[1:2], off offset:-4
	v_add_nc_u32_e32 v3, s3, v3
	v_add_co_u32 v1, vcc_lo, v1, s16
	v_add_co_ci_u32_e32 v2, vcc_lo, 0, v2, vcc_lo
	s_delay_alu instid0(VALU_DEP_3) | instskip(NEXT) | instid1(VALU_DEP_1)
	v_cmp_le_i32_e64 s2, s12, v3
	s_or_b32 s14, s2, s14
	s_waitcnt vmcnt(0)
	v_fma_mix_f32 v4, v5, v5, v4 op_sel_hi:[1,1,0]
	s_delay_alu instid0(VALU_DEP_1) | instskip(NEXT) | instid1(VALU_DEP_1)
	v_fma_mix_f32 v4, v5, v5, v4 op_sel:[1,1,0] op_sel_hi:[1,1,0]
	v_fma_mix_f32 v4, v6, v6, v4 op_sel_hi:[1,1,0]
	s_delay_alu instid0(VALU_DEP_1)
	v_fma_mix_f32 v4, v6, v6, v4 op_sel:[1,1,0] op_sel_hi:[1,1,0]
	s_and_not1_b32 exec_lo, exec_lo, s14
	s_cbranch_execnz .LBB7_7
; %bb.8:
	s_or_b32 exec_lo, exec_lo, s14
.LBB7_9:
	s_delay_alu instid0(SALU_CYCLE_1) | instskip(SKIP_2) | instid1(VALU_DEP_1)
	s_or_b32 exec_lo, exec_lo, s13
	v_lshl_add_u32 v1, s12, 2, v0
	s_mov_b32 s12, exec_lo
	v_cmpx_gt_i32_e64 s11, v1
	s_cbranch_execz .LBB7_13
; %bb.10:
	v_ashrrev_i32_e32 v2, 31, v1
	s_lshl_b64 s[8:9], s[8:9], 1
	s_delay_alu instid0(SALU_CYCLE_1) | instskip(SKIP_1) | instid1(VALU_DEP_1)
	s_add_u32 s2, s6, s8
	s_addc_u32 s8, s7, s9
	v_lshlrev_b64 v[2:3], 1, v[1:2]
	s_add_u32 s2, s4, s2
	s_addc_u32 s8, s5, s8
	s_lshl_b32 s9, s3, 1
	s_delay_alu instid0(VALU_DEP_1) | instskip(NEXT) | instid1(VALU_DEP_2)
	v_add_co_u32 v2, vcc_lo, s2, v2
	v_add_co_ci_u32_e32 v3, vcc_lo, s8, v3, vcc_lo
	s_mov_b32 s8, 0
.LBB7_11:                               ; =>This Inner Loop Header: Depth=1
	global_load_u16 v5, v[2:3], off
	v_add_nc_u32_e32 v1, s3, v1
	v_add_co_u32 v2, vcc_lo, v2, s9
	v_add_co_ci_u32_e32 v3, vcc_lo, 0, v3, vcc_lo
	s_delay_alu instid0(VALU_DEP_3) | instskip(NEXT) | instid1(VALU_DEP_1)
	v_cmp_le_i32_e64 s2, s11, v1
	s_or_b32 s8, s2, s8
	s_waitcnt vmcnt(0)
	v_fma_mix_f32 v4, v5, v5, v4 op_sel_hi:[1,1,0]
	s_and_not1_b32 exec_lo, exec_lo, s8
	s_cbranch_execnz .LBB7_11
; %bb.12:
	s_or_b32 exec_lo, exec_lo, s8
.LBB7_13:
	s_delay_alu instid0(SALU_CYCLE_1)
	s_or_b32 exec_lo, exec_lo, s12
	s_branch .LBB7_20
.LBB7_14:
                                        ; implicit-def: $vgpr4
	s_cbranch_execz .LBB7_20
; %bb.15:
	v_mov_b32_e32 v4, 0
	s_ashr_i32 s9, s10, 2
	s_mov_b32 s8, exec_lo
	v_cmpx_gt_i32_e64 s9, v0
	s_cbranch_execz .LBB7_19
; %bb.16:
	v_dual_mov_b32 v4, 0 :: v_dual_lshlrev_b32 v1, 3, v0
	s_add_u32 s2, s4, s6
	s_addc_u32 s11, s5, s7
	v_mov_b32_e32 v3, v0
	s_delay_alu instid0(VALU_DEP_2) | instskip(NEXT) | instid1(VALU_DEP_1)
	v_add_co_u32 v1, s2, s2, v1
	v_add_co_ci_u32_e64 v2, null, s11, 0, s2
	s_mov_b32 s11, 0
	s_delay_alu instid0(VALU_DEP_2) | instskip(NEXT) | instid1(VALU_DEP_2)
	v_add_co_u32 v1, vcc_lo, v1, 4
	v_add_co_ci_u32_e32 v2, vcc_lo, 0, v2, vcc_lo
	s_lshl_b32 s12, s3, 3
	.p2align	6
.LBB7_17:                               ; =>This Inner Loop Header: Depth=1
	global_load_b64 v[5:6], v[1:2], off offset:-4
	v_add_nc_u32_e32 v3, s3, v3
	v_add_co_u32 v1, vcc_lo, v1, s12
	v_add_co_ci_u32_e32 v2, vcc_lo, 0, v2, vcc_lo
	s_delay_alu instid0(VALU_DEP_3) | instskip(NEXT) | instid1(VALU_DEP_1)
	v_cmp_le_i32_e64 s2, s9, v3
	s_or_b32 s11, s2, s11
	s_waitcnt vmcnt(0)
	v_fma_mix_f32 v4, v5, v5, v4 op_sel_hi:[1,1,0]
	s_delay_alu instid0(VALU_DEP_1) | instskip(NEXT) | instid1(VALU_DEP_1)
	v_fma_mix_f32 v4, v5, v5, v4 op_sel:[1,1,0] op_sel_hi:[1,1,0]
	v_fma_mix_f32 v4, v6, v6, v4 op_sel_hi:[1,1,0]
	s_delay_alu instid0(VALU_DEP_1)
	v_fma_mix_f32 v4, v6, v6, v4 op_sel:[1,1,0] op_sel_hi:[1,1,0]
	s_and_not1_b32 exec_lo, exec_lo, s11
	s_cbranch_execnz .LBB7_17
; %bb.18:
	s_or_b32 exec_lo, exec_lo, s11
.LBB7_19:
	s_delay_alu instid0(SALU_CYCLE_1)
	s_or_b32 exec_lo, exec_lo, s8
.LBB7_20:
	v_mbcnt_lo_u32_b32 v1, -1, 0
	v_and_b32_e32 v3, 0x3e0, v0
	s_mov_b32 s2, exec_lo
	s_delay_alu instid0(VALU_DEP_2) | instskip(NEXT) | instid1(VALU_DEP_2)
	v_cmp_ne_u32_e32 vcc_lo, 31, v1
	v_sub_nc_u32_e64 v12, s3, v3 clamp
	v_add_nc_u32_e32 v3, 1, v1
	v_add_co_ci_u32_e32 v2, vcc_lo, 0, v1, vcc_lo
	v_cmp_gt_u32_e32 vcc_lo, 30, v1
	s_delay_alu instid0(VALU_DEP_2)
	v_lshlrev_b32_e32 v2, 2, v2
	v_cndmask_b32_e64 v6, 0, 1, vcc_lo
	v_cmp_lt_u32_e32 vcc_lo, v3, v12
	ds_bpermute_b32 v5, v2, v4
	s_waitcnt lgkmcnt(0)
	v_dual_add_f32 v7, v4, v5 :: v_dual_lshlrev_b32 v6, 1, v6
	s_delay_alu instid0(VALU_DEP_1) | instskip(NEXT) | instid1(VALU_DEP_2)
	v_cndmask_b32_e32 v7, v4, v7, vcc_lo
	v_add_lshl_u32 v5, v6, v1, 2
	v_cmp_gt_u32_e32 vcc_lo, 28, v1
	ds_bpermute_b32 v6, v5, v7
	v_cndmask_b32_e64 v4, 0, 1, vcc_lo
	s_delay_alu instid0(VALU_DEP_1) | instskip(SKIP_1) | instid1(VALU_DEP_1)
	v_lshlrev_b32_e32 v8, 2, v4
	v_add_nc_u32_e32 v4, 2, v1
	v_cmp_lt_u32_e32 vcc_lo, v4, v12
	s_waitcnt lgkmcnt(0)
	v_add_f32_e32 v9, v7, v6
	v_add_lshl_u32 v6, v8, v1, 2
	s_delay_alu instid0(VALU_DEP_2) | instskip(SKIP_2) | instid1(VALU_DEP_1)
	v_cndmask_b32_e32 v9, v7, v9, vcc_lo
	v_cmp_gt_u32_e32 vcc_lo, 24, v1
	v_cndmask_b32_e64 v7, 0, 1, vcc_lo
	v_lshlrev_b32_e32 v10, 3, v7
	ds_bpermute_b32 v8, v6, v9
	v_add_nc_u32_e32 v7, 4, v1
	s_delay_alu instid0(VALU_DEP_1) | instskip(SKIP_3) | instid1(VALU_DEP_2)
	v_cmp_lt_u32_e32 vcc_lo, v7, v12
	s_waitcnt lgkmcnt(0)
	v_add_f32_e32 v11, v9, v8
	v_add_lshl_u32 v8, v10, v1, 2
	v_cndmask_b32_e32 v11, v9, v11, vcc_lo
	v_cmp_gt_u32_e32 vcc_lo, 16, v1
	ds_bpermute_b32 v10, v8, v11
	v_cndmask_b32_e64 v9, 0, 1, vcc_lo
	s_delay_alu instid0(VALU_DEP_1) | instskip(SKIP_1) | instid1(VALU_DEP_1)
	v_lshlrev_b32_e32 v13, 4, v9
	v_add_nc_u32_e32 v9, 8, v1
	v_cmp_lt_u32_e32 vcc_lo, v9, v12
	s_waitcnt lgkmcnt(0)
	v_add_f32_e32 v14, v11, v10
	v_add_lshl_u32 v10, v13, v1, 2
	s_delay_alu instid0(VALU_DEP_2)
	v_cndmask_b32_e32 v13, v11, v14, vcc_lo
	v_add_nc_u32_e32 v11, 16, v1
	ds_bpermute_b32 v14, v10, v13
	v_cmp_lt_u32_e32 vcc_lo, v11, v12
	s_waitcnt lgkmcnt(0)
	v_add_f32_e32 v14, v13, v14
	s_delay_alu instid0(VALU_DEP_1)
	v_cndmask_b32_e32 v12, v13, v14, vcc_lo
	v_cmpx_eq_u32_e32 0, v1
	s_cbranch_execz .LBB7_22
; %bb.21:
	v_lshrrev_b32_e32 v13, 3, v0
	s_delay_alu instid0(VALU_DEP_1)
	v_and_b32_e32 v13, 0x7c, v13
	ds_store_b32 v13, v12
.LBB7_22:
	s_or_b32 exec_lo, exec_lo, s2
	s_delay_alu instid0(SALU_CYCLE_1)
	s_mov_b32 s2, exec_lo
	s_waitcnt lgkmcnt(0)
	s_barrier
	buffer_gl0_inv
	v_cmpx_gt_u32_e32 32, v0
	s_cbranch_execz .LBB7_24
; %bb.23:
	v_lshlrev_b32_e32 v1, 2, v1
	s_add_i32 s8, s3, 31
	s_delay_alu instid0(SALU_CYCLE_1) | instskip(NEXT) | instid1(SALU_CYCLE_1)
	s_lshr_b32 s8, s8, 5
	v_cmp_gt_u32_e32 vcc_lo, s8, v3
	ds_load_b32 v1, v1
	s_waitcnt lgkmcnt(0)
	ds_bpermute_b32 v2, v2, v1
	s_waitcnt lgkmcnt(0)
	v_add_f32_e32 v2, v1, v2
	s_delay_alu instid0(VALU_DEP_1) | instskip(SKIP_4) | instid1(VALU_DEP_1)
	v_cndmask_b32_e32 v1, v1, v2, vcc_lo
	v_cmp_gt_u32_e32 vcc_lo, s8, v4
	ds_bpermute_b32 v2, v5, v1
	s_waitcnt lgkmcnt(0)
	v_add_f32_e32 v2, v1, v2
	v_cndmask_b32_e32 v1, v1, v2, vcc_lo
	v_cmp_gt_u32_e32 vcc_lo, s8, v7
	ds_bpermute_b32 v2, v6, v1
	s_waitcnt lgkmcnt(0)
	v_add_f32_e32 v2, v1, v2
	s_delay_alu instid0(VALU_DEP_1) | instskip(SKIP_4) | instid1(VALU_DEP_1)
	v_cndmask_b32_e32 v1, v1, v2, vcc_lo
	v_cmp_gt_u32_e32 vcc_lo, s8, v9
	ds_bpermute_b32 v2, v8, v1
	s_waitcnt lgkmcnt(0)
	v_add_f32_e32 v2, v1, v2
	v_cndmask_b32_e32 v1, v1, v2, vcc_lo
	v_cmp_gt_u32_e32 vcc_lo, s8, v11
	ds_bpermute_b32 v2, v10, v1
	s_waitcnt lgkmcnt(0)
	v_add_f32_e32 v2, v1, v2
	s_delay_alu instid0(VALU_DEP_1)
	v_cndmask_b32_e32 v12, v1, v2, vcc_lo
.LBB7_24:
	s_or_b32 exec_lo, exec_lo, s2
	s_delay_alu instid0(SALU_CYCLE_1)
	s_mov_b32 s2, exec_lo
	v_cmpx_eq_u32_e32 0, v0
	s_cbranch_execz .LBB7_26
; %bb.25:
	v_cvt_f32_i32_e32 v1, s10
	s_load_b32 s8, s[0:1], 0x40
	s_delay_alu instid0(VALU_DEP_1) | instskip(SKIP_1) | instid1(VALU_DEP_2)
	v_div_scale_f32 v2, null, v1, v1, v12
	v_div_scale_f32 v5, vcc_lo, v12, v1, v12
	v_rcp_f32_e32 v3, v2
	s_waitcnt_depctr 0xfff
	v_fma_f32 v4, -v2, v3, 1.0
	s_delay_alu instid0(VALU_DEP_1) | instskip(NEXT) | instid1(VALU_DEP_1)
	v_fmac_f32_e32 v3, v4, v3
	v_mul_f32_e32 v4, v5, v3
	s_delay_alu instid0(VALU_DEP_1) | instskip(NEXT) | instid1(VALU_DEP_1)
	v_fma_f32 v6, -v2, v4, v5
	v_fmac_f32_e32 v4, v6, v3
	s_delay_alu instid0(VALU_DEP_1) | instskip(NEXT) | instid1(VALU_DEP_1)
	v_fma_f32 v2, -v2, v4, v5
	v_div_fmas_f32 v2, v2, v3, v4
	s_delay_alu instid0(VALU_DEP_1) | instskip(SKIP_1) | instid1(VALU_DEP_1)
	v_div_fixup_f32 v1, v2, v1, v12
	s_waitcnt lgkmcnt(0)
	v_add_f32_e32 v1, s8, v1
	s_delay_alu instid0(VALU_DEP_1) | instskip(SKIP_1) | instid1(VALU_DEP_2)
	v_mul_f32_e32 v2, 0x4b800000, v1
	v_cmp_gt_f32_e32 vcc_lo, 0x800000, v1
	v_cndmask_b32_e32 v1, v1, v2, vcc_lo
	s_delay_alu instid0(VALU_DEP_1) | instskip(SKIP_2) | instid1(VALU_DEP_1)
	v_rsq_f32_e32 v1, v1
	s_waitcnt_depctr 0xfff
	v_mul_f32_e32 v2, 0x45800000, v1
	v_dual_cndmask_b32 v1, v1, v2 :: v_dual_mov_b32 v2, 0
	ds_store_b32 v2, v1 offset:128
.LBB7_26:
	s_or_b32 exec_lo, exec_lo, s2
	s_ashr_i32 s2, s10, 31
	s_waitcnt lgkmcnt(0)
	s_lshr_b32 s2, s2, 30
	s_barrier
	s_add_i32 s2, s10, s2
	buffer_gl0_inv
	s_ashr_i32 s2, s2, 2
	s_mov_b32 s8, exec_lo
	v_cmpx_gt_i32_e64 s2, v0
	s_cbranch_execz .LBB7_29
; %bb.27:
	s_clause 0x1
	s_load_b64 s[8:9], s[0:1], 0x0
	s_load_b64 s[12:13], s[0:1], 0x38
	v_mov_b32_e32 v1, 0
	s_mul_i32 s0, s15, s10
	s_mov_b32 s1, 0
	v_lshlrev_b32_e32 v3, 3, v0
	s_lshl_b64 s[10:11], s[0:1], 1
	ds_load_b32 v2, v1 offset:128
	s_waitcnt lgkmcnt(0)
	s_add_u32 s8, s8, s10
	s_addc_u32 s9, s9, s11
	s_lshl_b32 s10, s3, 3
	s_add_u32 s0, s4, s6
	s_addc_u32 s5, s7, s5
	s_add_u32 s4, s0, 4
	s_addc_u32 s5, s5, 0
	;; [unrolled: 2-line block ×3, first 2 shown]
	s_set_inst_prefetch_distance 0x1
	.p2align	6
.LBB7_28:                               ; =>This Inner Loop Header: Depth=1
	v_add_co_u32 v4, vcc_lo, s4, v3
	v_add_co_ci_u32_e32 v5, vcc_lo, s5, v1, vcc_lo
	v_add_co_u32 v6, vcc_lo, s6, v3
	v_add_co_ci_u32_e32 v7, vcc_lo, s7, v1, vcc_lo
	global_load_b64 v[4:5], v[4:5], off offset:-4
	v_add_nc_u32_e32 v0, s3, v0
	v_add_co_u32 v8, vcc_lo, s8, v3
	global_load_b64 v[6:7], v[6:7], off offset:-4
	v_add_co_ci_u32_e32 v9, vcc_lo, s9, v1, vcc_lo
	v_add_co_u32 v3, vcc_lo, v3, s10
	v_cmp_le_i32_e64 s0, s2, v0
	v_add_co_ci_u32_e32 v1, vcc_lo, 0, v1, vcc_lo
	s_delay_alu instid0(VALU_DEP_2) | instskip(SKIP_3) | instid1(VALU_DEP_2)
	s_or_b32 s1, s0, s1
	s_waitcnt vmcnt(1)
	v_fma_mixlo_f16 v10, v2, v4, 0 op_sel_hi:[0,1,0]
	v_fma_mixlo_f16 v11, v2, v5, 0 op_sel_hi:[0,1,0]
	v_fma_mixhi_f16 v10, v2, v4, 0 op_sel:[0,1,0] op_sel_hi:[0,1,0]
	s_delay_alu instid0(VALU_DEP_2) | instskip(SKIP_1) | instid1(VALU_DEP_2)
	v_fma_mixhi_f16 v11, v2, v5, 0 op_sel:[0,1,0] op_sel_hi:[0,1,0]
	s_waitcnt vmcnt(0)
	v_pk_mul_f16 v4, v6, v10
	s_delay_alu instid0(VALU_DEP_2)
	v_pk_mul_f16 v5, v7, v11
	global_store_b64 v[8:9], v[4:5], off
	s_and_not1_b32 exec_lo, exec_lo, s1
	s_cbranch_execnz .LBB7_28
.LBB7_29:
	s_set_inst_prefetch_distance 0x2
	s_nop 0
	s_sendmsg sendmsg(MSG_DEALLOC_VGPRS)
	s_endpgm
	.section	.rodata,"a",@progbits
	.p2align	6, 0x0
	.amdhsa_kernel _ZN4vllm15rms_norm_kernelIN3c104HalfELi4ELi2EEEvPT_PKS3_lllllS6_fii
		.amdhsa_group_segment_fixed_size 132
		.amdhsa_private_segment_fixed_size 0
		.amdhsa_kernarg_size 336
		.amdhsa_user_sgpr_count 15
		.amdhsa_user_sgpr_dispatch_ptr 0
		.amdhsa_user_sgpr_queue_ptr 0
		.amdhsa_user_sgpr_kernarg_segment_ptr 1
		.amdhsa_user_sgpr_dispatch_id 0
		.amdhsa_user_sgpr_private_segment_size 0
		.amdhsa_wavefront_size32 1
		.amdhsa_uses_dynamic_stack 0
		.amdhsa_enable_private_segment 0
		.amdhsa_system_sgpr_workgroup_id_x 1
		.amdhsa_system_sgpr_workgroup_id_y 0
		.amdhsa_system_sgpr_workgroup_id_z 0
		.amdhsa_system_sgpr_workgroup_info 0
		.amdhsa_system_vgpr_workitem_id 0
		.amdhsa_next_free_vgpr 15
		.amdhsa_next_free_sgpr 18
		.amdhsa_reserve_vcc 1
		.amdhsa_float_round_mode_32 0
		.amdhsa_float_round_mode_16_64 0
		.amdhsa_float_denorm_mode_32 3
		.amdhsa_float_denorm_mode_16_64 3
		.amdhsa_dx10_clamp 1
		.amdhsa_ieee_mode 1
		.amdhsa_fp16_overflow 0
		.amdhsa_workgroup_processor_mode 1
		.amdhsa_memory_ordered 1
		.amdhsa_forward_progress 0
		.amdhsa_shared_vgpr_count 0
		.amdhsa_exception_fp_ieee_invalid_op 0
		.amdhsa_exception_fp_denorm_src 0
		.amdhsa_exception_fp_ieee_div_zero 0
		.amdhsa_exception_fp_ieee_overflow 0
		.amdhsa_exception_fp_ieee_underflow 0
		.amdhsa_exception_fp_ieee_inexact 0
		.amdhsa_exception_int_div_zero 0
	.end_amdhsa_kernel
	.section	.text._ZN4vllm15rms_norm_kernelIN3c104HalfELi4ELi2EEEvPT_PKS3_lllllS6_fii,"axG",@progbits,_ZN4vllm15rms_norm_kernelIN3c104HalfELi4ELi2EEEvPT_PKS3_lllllS6_fii,comdat
.Lfunc_end7:
	.size	_ZN4vllm15rms_norm_kernelIN3c104HalfELi4ELi2EEEvPT_PKS3_lllllS6_fii, .Lfunc_end7-_ZN4vllm15rms_norm_kernelIN3c104HalfELi4ELi2EEEvPT_PKS3_lllllS6_fii
                                        ; -- End function
	.section	.AMDGPU.csdata,"",@progbits
; Kernel info:
; codeLenInByte = 1916
; NumSgprs: 20
; NumVgprs: 15
; ScratchSize: 0
; MemoryBound: 0
; FloatMode: 240
; IeeeMode: 1
; LDSByteSize: 132 bytes/workgroup (compile time only)
; SGPRBlocks: 2
; VGPRBlocks: 1
; NumSGPRsForWavesPerEU: 20
; NumVGPRsForWavesPerEU: 15
; Occupancy: 16
; WaveLimiterHint : 0
; COMPUTE_PGM_RSRC2:SCRATCH_EN: 0
; COMPUTE_PGM_RSRC2:USER_SGPR: 15
; COMPUTE_PGM_RSRC2:TRAP_HANDLER: 0
; COMPUTE_PGM_RSRC2:TGID_X_EN: 1
; COMPUTE_PGM_RSRC2:TGID_Y_EN: 0
; COMPUTE_PGM_RSRC2:TGID_Z_EN: 0
; COMPUTE_PGM_RSRC2:TIDIG_COMP_CNT: 0
	.section	.text._ZN4vllm15rms_norm_kernelIN3c104HalfELi2ELi2EEEvPT_PKS3_lllllS6_fii,"axG",@progbits,_ZN4vllm15rms_norm_kernelIN3c104HalfELi2ELi2EEEvPT_PKS3_lllllS6_fii,comdat
	.protected	_ZN4vllm15rms_norm_kernelIN3c104HalfELi2ELi2EEEvPT_PKS3_lllllS6_fii ; -- Begin function _ZN4vllm15rms_norm_kernelIN3c104HalfELi2ELi2EEEvPT_PKS3_lllllS6_fii
	.globl	_ZN4vllm15rms_norm_kernelIN3c104HalfELi2ELi2EEEvPT_PKS3_lllllS6_fii
	.p2align	8
	.type	_ZN4vllm15rms_norm_kernelIN3c104HalfELi2ELi2EEEvPT_PKS3_lllllS6_fii,@function
_ZN4vllm15rms_norm_kernelIN3c104HalfELi2ELi2EEEvPT_PKS3_lllllS6_fii: ; @_ZN4vllm15rms_norm_kernelIN3c104HalfELi2ELi2EEEvPT_PKS3_lllllS6_fii
; %bb.0:
	s_clause 0x2
	s_load_b128 s[4:7], s[0:1], 0x8
	s_load_b32 s10, s[0:1], 0x5c
	s_load_b32 s13, s[0:1], 0x48
	s_waitcnt lgkmcnt(0)
	s_mul_i32 s3, s15, s7
	s_mul_hi_u32 s7, s15, s6
	s_mul_i32 s2, s15, s6
	s_add_i32 s3, s7, s3
	s_delay_alu instid0(SALU_CYCLE_1)
	s_lshl_b64 s[8:9], s[2:3], 1
	s_mov_b32 s3, 0
	s_add_u32 s6, s4, s8
	s_addc_u32 s7, s5, s9
	s_and_b32 s2, s6, 3
	s_and_b32 s12, s10, 0xffff
	s_cmp_lg_u64 s[2:3], 0
	s_cselect_b32 s2, -1, 0
	s_bitcmp1_b32 s13, 0
	s_cselect_b32 s3, -1, 0
	s_delay_alu instid0(SALU_CYCLE_1) | instskip(NEXT) | instid1(SALU_CYCLE_1)
	s_or_b32 s2, s2, s3
	s_and_b32 vcc_lo, exec_lo, s2
	s_cbranch_vccz .LBB8_13
; %bb.1:
	s_sub_i32 s2, 0, s6
	v_mov_b32_e32 v4, 0
	s_bfe_u32 s2, s2, 0x10001
	s_mov_b32 s11, exec_lo
	s_min_i32 s10, s2, s13
	s_delay_alu instid0(SALU_CYCLE_1)
	v_cmpx_gt_i32_e64 s10, v0
	s_cbranch_execz .LBB8_4
; %bb.2:
	v_dual_mov_b32 v1, 0 :: v_dual_mov_b32 v4, 0
	s_lshl_b32 s14, s12, 1
	s_mov_b32 s16, 0
	s_mov_b64 s[2:3], s[6:7]
.LBB8_3:                                ; =>This Inner Loop Header: Depth=1
	global_load_u16 v2, v1, s[2:3]
	s_add_i32 s16, s16, s12
	s_add_u32 s2, s2, s14
	s_addc_u32 s3, s3, 0
	s_cmp_ge_i32 s16, s10
	s_waitcnt vmcnt(0)
	v_fma_mix_f32 v4, v2, v2, v4 op_sel_hi:[1,1,0]
	s_cbranch_scc0 .LBB8_3
.LBB8_4:
	s_or_b32 exec_lo, exec_lo, s11
	s_sub_i32 s3, s13, s10
	s_ashr_i32 s11, s10, 31
	s_lshr_b32 s2, s3, 31
	s_mov_b32 s16, exec_lo
	s_add_i32 s2, s3, s2
	s_delay_alu instid0(SALU_CYCLE_1) | instskip(NEXT) | instid1(SALU_CYCLE_1)
	s_ashr_i32 s14, s2, 1
	v_cmpx_gt_i32_e64 s14, v0
	s_cbranch_execz .LBB8_8
; %bb.5:
	s_lshl_b64 s[18:19], s[10:11], 1
	v_lshlrev_b32_e32 v1, 2, v0
	s_add_u32 s2, s4, s18
	s_addc_u32 s17, s5, s19
	s_add_u32 s2, s2, s8
	s_addc_u32 s17, s17, s9
	v_add_co_u32 v1, s2, s2, v1
	s_delay_alu instid0(VALU_DEP_1) | instskip(SKIP_1) | instid1(VALU_DEP_3)
	v_add_co_ci_u32_e64 v2, null, s17, 0, s2
	v_mov_b32_e32 v3, v0
	v_add_co_u32 v1, vcc_lo, v1, 2
	s_delay_alu instid0(VALU_DEP_3)
	v_add_co_ci_u32_e32 v2, vcc_lo, 0, v2, vcc_lo
	s_mov_b32 s17, 0
	s_lshl_b32 s18, s12, 2
.LBB8_6:                                ; =>This Inner Loop Header: Depth=1
	global_load_b32 v5, v[1:2], off offset:-2
	v_add_nc_u32_e32 v3, s12, v3
	v_add_co_u32 v1, vcc_lo, v1, s18
	v_add_co_ci_u32_e32 v2, vcc_lo, 0, v2, vcc_lo
	s_delay_alu instid0(VALU_DEP_3) | instskip(NEXT) | instid1(VALU_DEP_1)
	v_cmp_le_i32_e64 s2, s14, v3
	s_or_b32 s17, s2, s17
	s_waitcnt vmcnt(0)
	v_fma_mix_f32 v4, v5, v5, v4 op_sel_hi:[1,1,0]
	s_delay_alu instid0(VALU_DEP_1)
	v_fma_mix_f32 v4, v5, v5, v4 op_sel:[1,1,0] op_sel_hi:[1,1,0]
	s_and_not1_b32 exec_lo, exec_lo, s17
	s_cbranch_execnz .LBB8_6
; %bb.7:
	s_or_b32 exec_lo, exec_lo, s17
.LBB8_8:
	s_delay_alu instid0(SALU_CYCLE_1) | instskip(SKIP_2) | instid1(VALU_DEP_1)
	s_or_b32 exec_lo, exec_lo, s16
	v_lshl_add_u32 v1, s14, 1, v0
	s_mov_b32 s14, exec_lo
	v_cmpx_gt_i32_e64 s3, v1
	s_cbranch_execz .LBB8_12
; %bb.9:
	v_ashrrev_i32_e32 v2, 31, v1
	s_lshl_b64 s[10:11], s[10:11], 1
	s_delay_alu instid0(SALU_CYCLE_1) | instskip(SKIP_1) | instid1(VALU_DEP_1)
	s_add_u32 s2, s8, s10
	s_addc_u32 s10, s9, s11
	v_lshlrev_b64 v[2:3], 1, v[1:2]
	s_add_u32 s2, s4, s2
	s_addc_u32 s10, s5, s10
	s_lshl_b32 s11, s12, 1
	s_delay_alu instid0(VALU_DEP_1) | instskip(NEXT) | instid1(VALU_DEP_2)
	v_add_co_u32 v2, vcc_lo, s2, v2
	v_add_co_ci_u32_e32 v3, vcc_lo, s10, v3, vcc_lo
	s_mov_b32 s10, 0
.LBB8_10:                               ; =>This Inner Loop Header: Depth=1
	global_load_u16 v5, v[2:3], off
	v_add_nc_u32_e32 v1, s12, v1
	v_add_co_u32 v2, vcc_lo, v2, s11
	v_add_co_ci_u32_e32 v3, vcc_lo, 0, v3, vcc_lo
	s_delay_alu instid0(VALU_DEP_3) | instskip(NEXT) | instid1(VALU_DEP_1)
	v_cmp_le_i32_e64 s2, s3, v1
	s_or_b32 s10, s2, s10
	s_waitcnt vmcnt(0)
	v_fma_mix_f32 v4, v5, v5, v4 op_sel_hi:[1,1,0]
	s_and_not1_b32 exec_lo, exec_lo, s10
	s_cbranch_execnz .LBB8_10
; %bb.11:
	s_or_b32 exec_lo, exec_lo, s10
.LBB8_12:
	s_delay_alu instid0(SALU_CYCLE_1)
	s_or_b32 exec_lo, exec_lo, s14
	s_branch .LBB8_19
.LBB8_13:
                                        ; implicit-def: $vgpr4
	s_cbranch_execz .LBB8_19
; %bb.14:
	v_mov_b32_e32 v4, 0
	s_ashr_i32 s10, s13, 1
	s_mov_b32 s3, exec_lo
	v_cmpx_gt_i32_e64 s10, v0
	s_cbranch_execz .LBB8_18
; %bb.15:
	v_dual_mov_b32 v4, 0 :: v_dual_lshlrev_b32 v1, 2, v0
	s_add_u32 s2, s4, s8
	s_addc_u32 s4, s5, s9
	v_mov_b32_e32 v3, v0
	s_delay_alu instid0(VALU_DEP_2) | instskip(NEXT) | instid1(VALU_DEP_1)
	v_add_co_u32 v1, s2, s2, v1
	v_add_co_ci_u32_e64 v2, null, s4, 0, s2
	s_mov_b32 s4, 0
	s_delay_alu instid0(VALU_DEP_2) | instskip(NEXT) | instid1(VALU_DEP_2)
	v_add_co_u32 v1, vcc_lo, v1, 2
	v_add_co_ci_u32_e32 v2, vcc_lo, 0, v2, vcc_lo
	s_lshl_b32 s5, s12, 2
.LBB8_16:                               ; =>This Inner Loop Header: Depth=1
	global_load_b32 v5, v[1:2], off offset:-2
	v_add_nc_u32_e32 v3, s12, v3
	v_add_co_u32 v1, vcc_lo, v1, s5
	v_add_co_ci_u32_e32 v2, vcc_lo, 0, v2, vcc_lo
	s_delay_alu instid0(VALU_DEP_3) | instskip(NEXT) | instid1(VALU_DEP_1)
	v_cmp_le_i32_e64 s2, s10, v3
	s_or_b32 s4, s2, s4
	s_waitcnt vmcnt(0)
	v_fma_mix_f32 v4, v5, v5, v4 op_sel_hi:[1,1,0]
	s_delay_alu instid0(VALU_DEP_1)
	v_fma_mix_f32 v4, v5, v5, v4 op_sel:[1,1,0] op_sel_hi:[1,1,0]
	s_and_not1_b32 exec_lo, exec_lo, s4
	s_cbranch_execnz .LBB8_16
; %bb.17:
	s_or_b32 exec_lo, exec_lo, s4
.LBB8_18:
	s_delay_alu instid0(SALU_CYCLE_1)
	s_or_b32 exec_lo, exec_lo, s3
.LBB8_19:
	v_mbcnt_lo_u32_b32 v1, -1, 0
	v_and_b32_e32 v3, 0x3e0, v0
	s_mov_b32 s2, exec_lo
	s_delay_alu instid0(VALU_DEP_2) | instskip(NEXT) | instid1(VALU_DEP_2)
	v_cmp_ne_u32_e32 vcc_lo, 31, v1
	v_sub_nc_u32_e64 v12, s12, v3 clamp
	v_add_nc_u32_e32 v3, 1, v1
	v_add_co_ci_u32_e32 v2, vcc_lo, 0, v1, vcc_lo
	v_cmp_gt_u32_e32 vcc_lo, 30, v1
	s_delay_alu instid0(VALU_DEP_2)
	v_lshlrev_b32_e32 v2, 2, v2
	v_cndmask_b32_e64 v6, 0, 1, vcc_lo
	v_cmp_lt_u32_e32 vcc_lo, v3, v12
	ds_bpermute_b32 v5, v2, v4
	s_waitcnt lgkmcnt(0)
	v_dual_add_f32 v7, v4, v5 :: v_dual_lshlrev_b32 v6, 1, v6
	s_delay_alu instid0(VALU_DEP_1) | instskip(NEXT) | instid1(VALU_DEP_2)
	v_cndmask_b32_e32 v7, v4, v7, vcc_lo
	v_add_lshl_u32 v5, v6, v1, 2
	v_cmp_gt_u32_e32 vcc_lo, 28, v1
	ds_bpermute_b32 v6, v5, v7
	v_cndmask_b32_e64 v4, 0, 1, vcc_lo
	s_delay_alu instid0(VALU_DEP_1) | instskip(SKIP_1) | instid1(VALU_DEP_1)
	v_lshlrev_b32_e32 v8, 2, v4
	v_add_nc_u32_e32 v4, 2, v1
	v_cmp_lt_u32_e32 vcc_lo, v4, v12
	s_waitcnt lgkmcnt(0)
	v_add_f32_e32 v9, v7, v6
	v_add_lshl_u32 v6, v8, v1, 2
	s_delay_alu instid0(VALU_DEP_2) | instskip(SKIP_2) | instid1(VALU_DEP_1)
	v_cndmask_b32_e32 v9, v7, v9, vcc_lo
	v_cmp_gt_u32_e32 vcc_lo, 24, v1
	v_cndmask_b32_e64 v7, 0, 1, vcc_lo
	v_lshlrev_b32_e32 v10, 3, v7
	ds_bpermute_b32 v8, v6, v9
	v_add_nc_u32_e32 v7, 4, v1
	s_delay_alu instid0(VALU_DEP_1) | instskip(SKIP_3) | instid1(VALU_DEP_2)
	v_cmp_lt_u32_e32 vcc_lo, v7, v12
	s_waitcnt lgkmcnt(0)
	v_add_f32_e32 v11, v9, v8
	v_add_lshl_u32 v8, v10, v1, 2
	v_cndmask_b32_e32 v11, v9, v11, vcc_lo
	v_cmp_gt_u32_e32 vcc_lo, 16, v1
	ds_bpermute_b32 v10, v8, v11
	v_cndmask_b32_e64 v9, 0, 1, vcc_lo
	s_delay_alu instid0(VALU_DEP_1) | instskip(SKIP_1) | instid1(VALU_DEP_1)
	v_lshlrev_b32_e32 v13, 4, v9
	v_add_nc_u32_e32 v9, 8, v1
	v_cmp_lt_u32_e32 vcc_lo, v9, v12
	s_waitcnt lgkmcnt(0)
	v_add_f32_e32 v14, v11, v10
	v_add_lshl_u32 v10, v13, v1, 2
	s_delay_alu instid0(VALU_DEP_2)
	v_cndmask_b32_e32 v13, v11, v14, vcc_lo
	v_add_nc_u32_e32 v11, 16, v1
	ds_bpermute_b32 v14, v10, v13
	v_cmp_lt_u32_e32 vcc_lo, v11, v12
	s_waitcnt lgkmcnt(0)
	v_add_f32_e32 v14, v13, v14
	s_delay_alu instid0(VALU_DEP_1)
	v_cndmask_b32_e32 v12, v13, v14, vcc_lo
	v_cmpx_eq_u32_e32 0, v1
	s_cbranch_execz .LBB8_21
; %bb.20:
	v_lshrrev_b32_e32 v13, 3, v0
	s_delay_alu instid0(VALU_DEP_1)
	v_and_b32_e32 v13, 0x7c, v13
	ds_store_b32 v13, v12
.LBB8_21:
	s_or_b32 exec_lo, exec_lo, s2
	s_delay_alu instid0(SALU_CYCLE_1)
	s_mov_b32 s2, exec_lo
	s_waitcnt lgkmcnt(0)
	s_barrier
	buffer_gl0_inv
	v_cmpx_gt_u32_e32 32, v0
	s_cbranch_execz .LBB8_23
; %bb.22:
	v_lshlrev_b32_e32 v1, 2, v1
	s_add_i32 s3, s12, 31
	s_delay_alu instid0(SALU_CYCLE_1) | instskip(NEXT) | instid1(SALU_CYCLE_1)
	s_lshr_b32 s3, s3, 5
	v_cmp_gt_u32_e32 vcc_lo, s3, v3
	ds_load_b32 v1, v1
	s_waitcnt lgkmcnt(0)
	ds_bpermute_b32 v2, v2, v1
	s_waitcnt lgkmcnt(0)
	v_add_f32_e32 v2, v1, v2
	s_delay_alu instid0(VALU_DEP_1) | instskip(SKIP_4) | instid1(VALU_DEP_1)
	v_cndmask_b32_e32 v1, v1, v2, vcc_lo
	v_cmp_gt_u32_e32 vcc_lo, s3, v4
	ds_bpermute_b32 v2, v5, v1
	s_waitcnt lgkmcnt(0)
	v_add_f32_e32 v2, v1, v2
	v_cndmask_b32_e32 v1, v1, v2, vcc_lo
	v_cmp_gt_u32_e32 vcc_lo, s3, v7
	ds_bpermute_b32 v2, v6, v1
	s_waitcnt lgkmcnt(0)
	v_add_f32_e32 v2, v1, v2
	s_delay_alu instid0(VALU_DEP_1) | instskip(SKIP_4) | instid1(VALU_DEP_1)
	v_cndmask_b32_e32 v1, v1, v2, vcc_lo
	v_cmp_gt_u32_e32 vcc_lo, s3, v9
	ds_bpermute_b32 v2, v8, v1
	s_waitcnt lgkmcnt(0)
	v_add_f32_e32 v2, v1, v2
	v_cndmask_b32_e32 v1, v1, v2, vcc_lo
	v_cmp_gt_u32_e32 vcc_lo, s3, v11
	ds_bpermute_b32 v2, v10, v1
	s_waitcnt lgkmcnt(0)
	v_add_f32_e32 v2, v1, v2
	s_delay_alu instid0(VALU_DEP_1)
	v_cndmask_b32_e32 v12, v1, v2, vcc_lo
.LBB8_23:
	s_or_b32 exec_lo, exec_lo, s2
	s_delay_alu instid0(SALU_CYCLE_1)
	s_mov_b32 s2, exec_lo
	v_cmpx_eq_u32_e32 0, v0
	s_cbranch_execz .LBB8_25
; %bb.24:
	v_cvt_f32_i32_e32 v1, s13
	s_load_b32 s3, s[0:1], 0x40
	s_delay_alu instid0(VALU_DEP_1) | instskip(SKIP_1) | instid1(VALU_DEP_2)
	v_div_scale_f32 v2, null, v1, v1, v12
	v_div_scale_f32 v5, vcc_lo, v12, v1, v12
	v_rcp_f32_e32 v3, v2
	s_waitcnt_depctr 0xfff
	v_fma_f32 v4, -v2, v3, 1.0
	s_delay_alu instid0(VALU_DEP_1) | instskip(NEXT) | instid1(VALU_DEP_1)
	v_fmac_f32_e32 v3, v4, v3
	v_mul_f32_e32 v4, v5, v3
	s_delay_alu instid0(VALU_DEP_1) | instskip(NEXT) | instid1(VALU_DEP_1)
	v_fma_f32 v6, -v2, v4, v5
	v_fmac_f32_e32 v4, v6, v3
	s_delay_alu instid0(VALU_DEP_1) | instskip(NEXT) | instid1(VALU_DEP_1)
	v_fma_f32 v2, -v2, v4, v5
	v_div_fmas_f32 v2, v2, v3, v4
	s_delay_alu instid0(VALU_DEP_1) | instskip(SKIP_1) | instid1(VALU_DEP_1)
	v_div_fixup_f32 v1, v2, v1, v12
	s_waitcnt lgkmcnt(0)
	v_add_f32_e32 v1, s3, v1
	s_delay_alu instid0(VALU_DEP_1) | instskip(SKIP_1) | instid1(VALU_DEP_2)
	v_mul_f32_e32 v2, 0x4b800000, v1
	v_cmp_gt_f32_e32 vcc_lo, 0x800000, v1
	v_cndmask_b32_e32 v1, v1, v2, vcc_lo
	s_delay_alu instid0(VALU_DEP_1) | instskip(SKIP_2) | instid1(VALU_DEP_1)
	v_rsq_f32_e32 v1, v1
	s_waitcnt_depctr 0xfff
	v_mul_f32_e32 v2, 0x45800000, v1
	v_dual_cndmask_b32 v1, v1, v2 :: v_dual_mov_b32 v2, 0
	ds_store_b32 v2, v1 offset:128
.LBB8_25:
	s_or_b32 exec_lo, exec_lo, s2
	s_lshr_b32 s2, s13, 31
	s_waitcnt lgkmcnt(0)
	s_add_i32 s2, s13, s2
	s_barrier
	s_ashr_i32 s8, s2, 1
	buffer_gl0_inv
	s_mov_b32 s2, exec_lo
	v_cmpx_gt_i32_e64 s8, v0
	s_cbranch_execz .LBB8_35
; %bb.26:
	v_cvt_f32_u32_e32 v1, s12
	s_clause 0x1
	s_load_b64 s[10:11], s[0:1], 0x0
	s_load_b64 s[2:3], s[0:1], 0x38
	s_mul_i32 s4, s15, s13
	s_mov_b32 s5, 0
	v_rcp_iflag_f32_e32 v1, v1
	s_lshl_b64 s[14:15], s[4:5], 1
	v_add_nc_u32_e32 v3, s12, v0
	s_delay_alu instid0(VALU_DEP_1) | instskip(SKIP_3) | instid1(VALU_DEP_1)
	v_cmp_gt_i32_e32 vcc_lo, s8, v3
	v_max_i32_e32 v4, s8, v3
	s_waitcnt_depctr 0xfff
	v_mul_f32_e32 v1, 0x4f7ffffe, v1
	v_cvt_u32_f32_e32 v1, v1
	s_waitcnt lgkmcnt(0)
	s_add_u32 s1, s10, s14
	s_addc_u32 s4, s11, s15
	s_sub_i32 s0, 0, s12
	s_cmp_lg_u32 s12, 1
	v_mul_lo_u32 v2, s0, v1
	v_add_co_ci_u32_e64 v3, s0, s12, v0, vcc_lo
	s_delay_alu instid0(VALU_DEP_1) | instskip(NEXT) | instid1(VALU_DEP_3)
	v_sub_nc_u32_e32 v3, v4, v3
	v_mul_hi_u32 v2, v1, v2
	s_delay_alu instid0(VALU_DEP_1) | instskip(NEXT) | instid1(VALU_DEP_1)
	v_add_nc_u32_e32 v1, v1, v2
	v_mul_hi_u32 v1, v3, v1
	s_delay_alu instid0(VALU_DEP_1) | instskip(NEXT) | instid1(VALU_DEP_1)
	v_mul_lo_u32 v2, v1, s12
	v_sub_nc_u32_e32 v2, v3, v2
	v_add_nc_u32_e32 v3, 1, v1
	s_delay_alu instid0(VALU_DEP_2) | instskip(SKIP_1) | instid1(VALU_DEP_1)
	v_subrev_nc_u32_e32 v4, s12, v2
	v_cmp_le_u32_e64 s0, s12, v2
	v_cndmask_b32_e64 v1, v1, v3, s0
	s_delay_alu instid0(VALU_DEP_3) | instskip(NEXT) | instid1(VALU_DEP_2)
	v_cndmask_b32_e64 v2, v2, v4, s0
	v_dual_mov_b32 v3, 0 :: v_dual_add_nc_u32 v4, 1, v1
	s_delay_alu instid0(VALU_DEP_2) | instskip(SKIP_3) | instid1(VALU_DEP_1)
	v_cmp_le_u32_e64 s0, s12, v2
	ds_load_b32 v5, v3 offset:128
	v_cndmask_b32_e64 v1, v1, v4, s0
	s_cselect_b32 s0, -1, 0
	v_add_co_ci_u32_e32 v6, vcc_lo, 1, v1, vcc_lo
	s_delay_alu instid0(VALU_DEP_1) | instskip(SKIP_1) | instid1(SALU_CYCLE_1)
	v_cmp_gt_u32_e32 vcc_lo, 2, v6
	s_or_b32 s0, vcc_lo, s0
	s_and_saveexec_b32 s9, s0
	s_delay_alu instid0(SALU_CYCLE_1)
	s_xor_b32 s0, exec_lo, s9
	s_cbranch_execnz .LBB8_29
; %bb.27:
	s_and_not1_saveexec_b32 s9, s0
	s_cbranch_execnz .LBB8_30
.LBB8_28:
	s_or_b32 exec_lo, exec_lo, s9
	s_delay_alu instid0(SALU_CYCLE_1)
	s_and_b32 exec_lo, exec_lo, s5
	s_cbranch_execnz .LBB8_33
	s_branch .LBB8_35
.LBB8_29:
	s_mov_b32 s5, exec_lo
                                        ; implicit-def: $vgpr6
	s_and_not1_saveexec_b32 s9, s0
	s_cbranch_execz .LBB8_28
.LBB8_30:
	v_dual_mov_b32 v2, 0 :: v_dual_and_b32 v7, -2, v6
	v_add_nc_u32_e32 v1, 1, v0
	s_mov_b32 s10, 0
	s_delay_alu instid0(VALU_DEP_2) | instskip(NEXT) | instid1(VALU_DEP_2)
	v_mov_b32_e32 v8, v7
	v_dual_mov_b32 v4, v1 :: v_dual_mov_b32 v3, v0
.LBB8_31:                               ; =>This Inner Loop Header: Depth=1
	s_delay_alu instid0(VALU_DEP_1) | instskip(SKIP_1) | instid1(VALU_DEP_2)
	v_dual_mov_b32 v1, v3 :: v_dual_add_nc_u32 v8, -2, v8
	v_add_nc_u32_e32 v3, 2, v3
	v_lshlrev_b64 v[9:10], 2, v[1:2]
	s_delay_alu instid0(VALU_DEP_4) | instskip(NEXT) | instid1(VALU_DEP_1)
	v_dual_mov_b32 v1, v4 :: v_dual_add_nc_u32 v4, 2, v4
	v_lshlrev_b64 v[11:12], 2, v[1:2]
	s_delay_alu instid0(VALU_DEP_3) | instskip(NEXT) | instid1(VALU_DEP_4)
	v_add_co_u32 v13, vcc_lo, s6, v9
	v_add_co_ci_u32_e32 v14, vcc_lo, s7, v10, vcc_lo
	v_add_co_u32 v15, vcc_lo, s2, v9
	v_add_co_ci_u32_e32 v16, vcc_lo, s3, v10, vcc_lo
	;; [unrolled: 2-line block ×4, first 2 shown]
	global_load_b32 v1, v[13:14], off
	s_clause 0x1
	global_load_b32 v13, v[15:16], off
	global_load_b32 v14, v[17:18], off
	;; [unrolled: 1-line block ×3, first 2 shown]
	v_add_co_u32 v9, s0, s1, v9
	v_cmp_eq_u32_e32 vcc_lo, 0, v8
	v_add_co_ci_u32_e64 v10, s0, s4, v10, s0
	v_add_co_u32 v11, s0, s1, v11
	s_delay_alu instid0(VALU_DEP_1)
	v_add_co_ci_u32_e64 v12, s0, s4, v12, s0
	s_or_b32 s10, vcc_lo, s10
	s_waitcnt vmcnt(3) lgkmcnt(0)
	v_fma_mixlo_f16 v16, v5, v1, 0 op_sel_hi:[0,1,0]
	v_fma_mixlo_f16 v1, v5, v1, 0 op_sel:[0,1,0] op_sel_hi:[0,1,0]
	s_waitcnt vmcnt(1)
	v_perm_b32 v17, v14, v13, 0x5040100
	v_perm_b32 v13, v14, v13, 0x7060302
	s_waitcnt vmcnt(0)
	v_fma_mixhi_f16 v16, v5, v15, 0 op_sel_hi:[0,1,0]
	v_fma_mixhi_f16 v1, v5, v15, 0 op_sel:[0,1,0] op_sel_hi:[0,1,0]
	s_delay_alu instid0(VALU_DEP_2) | instskip(NEXT) | instid1(VALU_DEP_2)
	v_pk_mul_f16 v14, v17, v16
	v_pk_mul_f16 v1, v13, v1
	s_delay_alu instid0(VALU_DEP_1)
	v_pack_b32_f16 v13, v14, v1
	v_perm_b32 v1, v1, v14, 0x7060302
	s_clause 0x1
	global_store_b32 v[9:10], v13, off
	global_store_b32 v[11:12], v1, off
	s_and_not1_b32 exec_lo, exec_lo, s10
	s_cbranch_execnz .LBB8_31
; %bb.32:
	s_or_b32 exec_lo, exec_lo, s10
	v_cmp_ne_u32_e32 vcc_lo, v6, v7
	v_add_nc_u32_e32 v0, v0, v7
	s_and_not1_b32 s0, s5, exec_lo
	s_and_b32 s5, vcc_lo, exec_lo
	s_delay_alu instid0(SALU_CYCLE_1) | instskip(SKIP_1) | instid1(SALU_CYCLE_1)
	s_or_b32 s5, s0, s5
	s_or_b32 exec_lo, exec_lo, s9
	s_and_b32 exec_lo, exec_lo, s5
	s_cbranch_execz .LBB8_35
.LBB8_33:
	v_mov_b32_e32 v1, 0
	s_waitcnt lgkmcnt(0)
	v_mov_b32_e32 v3, v5
	s_mov_b32 s5, 0
	s_lshl_b32 s9, s12, 2
	v_lshlrev_b64 v[1:2], 2, v[0:1]
	.p2align	6
.LBB8_34:                               ; =>This Inner Loop Header: Depth=1
	s_delay_alu instid0(VALU_DEP_1) | instskip(NEXT) | instid1(VALU_DEP_2)
	v_add_co_u32 v6, vcc_lo, s6, v1
	v_add_co_ci_u32_e32 v7, vcc_lo, s7, v2, vcc_lo
	v_add_nc_u32_e32 v0, s12, v0
	global_load_b32 v4, v[6:7], off
	v_add_co_u32 v6, vcc_lo, s2, v1
	v_add_co_ci_u32_e32 v7, vcc_lo, s3, v2, vcc_lo
	v_cmp_le_i32_e64 s0, s8, v0
	global_load_b32 v8, v[6:7], off
	v_add_co_u32 v6, vcc_lo, s1, v1
	v_add_co_ci_u32_e32 v7, vcc_lo, s4, v2, vcc_lo
	v_add_co_u32 v1, vcc_lo, v1, s9
	v_add_co_ci_u32_e32 v2, vcc_lo, 0, v2, vcc_lo
	s_or_b32 s5, s0, s5
	s_waitcnt vmcnt(1)
	v_fma_mixlo_f16 v9, v5, v4, 0 op_sel_hi:[0,1,0]
	s_delay_alu instid0(VALU_DEP_1) | instskip(SKIP_1) | instid1(VALU_DEP_1)
	v_fma_mixhi_f16 v9, v3, v4, 0 op_sel:[0,1,0] op_sel_hi:[0,1,0]
	s_waitcnt vmcnt(0)
	v_pk_mul_f16 v4, v8, v9
	global_store_b32 v[6:7], v4, off
	s_and_not1_b32 exec_lo, exec_lo, s5
	s_cbranch_execnz .LBB8_34
.LBB8_35:
	s_nop 0
	s_sendmsg sendmsg(MSG_DEALLOC_VGPRS)
	s_endpgm
	.section	.rodata,"a",@progbits
	.p2align	6, 0x0
	.amdhsa_kernel _ZN4vllm15rms_norm_kernelIN3c104HalfELi2ELi2EEEvPT_PKS3_lllllS6_fii
		.amdhsa_group_segment_fixed_size 132
		.amdhsa_private_segment_fixed_size 0
		.amdhsa_kernarg_size 336
		.amdhsa_user_sgpr_count 15
		.amdhsa_user_sgpr_dispatch_ptr 0
		.amdhsa_user_sgpr_queue_ptr 0
		.amdhsa_user_sgpr_kernarg_segment_ptr 1
		.amdhsa_user_sgpr_dispatch_id 0
		.amdhsa_user_sgpr_private_segment_size 0
		.amdhsa_wavefront_size32 1
		.amdhsa_uses_dynamic_stack 0
		.amdhsa_enable_private_segment 0
		.amdhsa_system_sgpr_workgroup_id_x 1
		.amdhsa_system_sgpr_workgroup_id_y 0
		.amdhsa_system_sgpr_workgroup_id_z 0
		.amdhsa_system_sgpr_workgroup_info 0
		.amdhsa_system_vgpr_workitem_id 0
		.amdhsa_next_free_vgpr 21
		.amdhsa_next_free_sgpr 20
		.amdhsa_reserve_vcc 1
		.amdhsa_float_round_mode_32 0
		.amdhsa_float_round_mode_16_64 0
		.amdhsa_float_denorm_mode_32 3
		.amdhsa_float_denorm_mode_16_64 3
		.amdhsa_dx10_clamp 1
		.amdhsa_ieee_mode 1
		.amdhsa_fp16_overflow 0
		.amdhsa_workgroup_processor_mode 1
		.amdhsa_memory_ordered 1
		.amdhsa_forward_progress 0
		.amdhsa_shared_vgpr_count 0
		.amdhsa_exception_fp_ieee_invalid_op 0
		.amdhsa_exception_fp_denorm_src 0
		.amdhsa_exception_fp_ieee_div_zero 0
		.amdhsa_exception_fp_ieee_overflow 0
		.amdhsa_exception_fp_ieee_underflow 0
		.amdhsa_exception_fp_ieee_inexact 0
		.amdhsa_exception_int_div_zero 0
	.end_amdhsa_kernel
	.section	.text._ZN4vllm15rms_norm_kernelIN3c104HalfELi2ELi2EEEvPT_PKS3_lllllS6_fii,"axG",@progbits,_ZN4vllm15rms_norm_kernelIN3c104HalfELi2ELi2EEEvPT_PKS3_lllllS6_fii,comdat
.Lfunc_end8:
	.size	_ZN4vllm15rms_norm_kernelIN3c104HalfELi2ELi2EEEvPT_PKS3_lllllS6_fii, .Lfunc_end8-_ZN4vllm15rms_norm_kernelIN3c104HalfELi2ELi2EEEvPT_PKS3_lllllS6_fii
                                        ; -- End function
	.section	.AMDGPU.csdata,"",@progbits
; Kernel info:
; codeLenInByte = 2404
; NumSgprs: 22
; NumVgprs: 21
; ScratchSize: 0
; MemoryBound: 0
; FloatMode: 240
; IeeeMode: 1
; LDSByteSize: 132 bytes/workgroup (compile time only)
; SGPRBlocks: 2
; VGPRBlocks: 2
; NumSGPRsForWavesPerEU: 22
; NumVGPRsForWavesPerEU: 21
; Occupancy: 16
; WaveLimiterHint : 0
; COMPUTE_PGM_RSRC2:SCRATCH_EN: 0
; COMPUTE_PGM_RSRC2:USER_SGPR: 15
; COMPUTE_PGM_RSRC2:TRAP_HANDLER: 0
; COMPUTE_PGM_RSRC2:TGID_X_EN: 1
; COMPUTE_PGM_RSRC2:TGID_Y_EN: 0
; COMPUTE_PGM_RSRC2:TGID_Z_EN: 0
; COMPUTE_PGM_RSRC2:TIDIG_COMP_CNT: 0
	.section	.text._ZN4vllm15rms_norm_kernelIN3c104HalfELi1ELi2EEEvPT_PKS3_lllllS6_fii,"axG",@progbits,_ZN4vllm15rms_norm_kernelIN3c104HalfELi1ELi2EEEvPT_PKS3_lllllS6_fii,comdat
	.protected	_ZN4vllm15rms_norm_kernelIN3c104HalfELi1ELi2EEEvPT_PKS3_lllllS6_fii ; -- Begin function _ZN4vllm15rms_norm_kernelIN3c104HalfELi1ELi2EEEvPT_PKS3_lllllS6_fii
	.globl	_ZN4vllm15rms_norm_kernelIN3c104HalfELi1ELi2EEEvPT_PKS3_lllllS6_fii
	.p2align	8
	.type	_ZN4vllm15rms_norm_kernelIN3c104HalfELi1ELi2EEEvPT_PKS3_lllllS6_fii,@function
_ZN4vllm15rms_norm_kernelIN3c104HalfELi1ELi2EEEvPT_PKS3_lllllS6_fii: ; @_ZN4vllm15rms_norm_kernelIN3c104HalfELi1ELi2EEEvPT_PKS3_lllllS6_fii
; %bb.0:
	s_clause 0x2
	s_load_b128 s[4:7], s[0:1], 0x8
	s_load_b32 s11, s[0:1], 0x5c
	s_load_b32 s8, s[0:1], 0x48
	s_waitcnt lgkmcnt(0)
	s_mul_i32 s3, s15, s7
	s_mul_hi_u32 s7, s15, s6
	s_mul_i32 s2, s15, s6
	s_add_i32 s3, s7, s3
	s_delay_alu instid0(SALU_CYCLE_1) | instskip(NEXT) | instid1(SALU_CYCLE_1)
	s_lshl_b64 s[6:7], s[2:3], 1
	s_add_u32 s9, s4, s6
	s_addc_u32 s10, s5, s7
	s_and_b32 s11, s11, 0xffff
	s_bitcmp1_b32 s9, 0
	s_cselect_b32 s2, -1, 0
	s_delay_alu instid0(SALU_CYCLE_1)
	s_and_b32 vcc_lo, exec_lo, s2
	s_cbranch_vccz .LBB9_6
; %bb.1:
	v_mov_b32_e32 v3, 0
	s_min_i32 s2, s8, 0
	s_mov_b32 s12, 0
	s_sub_i32 s14, s8, s2
	s_mov_b32 s13, exec_lo
	v_cmpx_gt_i32_e64 s14, v0
	s_cbranch_execz .LBB9_5
; %bb.2:
	s_ashr_i32 s3, s2, 31
	v_dual_mov_b32 v4, v0 :: v_dual_lshlrev_b32 v1, 1, v0
	s_lshl_b64 s[2:3], s[2:3], 1
	v_mov_b32_e32 v3, 0
	s_add_u32 s2, s6, s2
	s_addc_u32 s3, s7, s3
	s_add_u32 s2, s4, s2
	s_addc_u32 s3, s5, s3
	v_add_co_u32 v1, s2, s2, v1
	s_delay_alu instid0(VALU_DEP_1)
	v_add_co_ci_u32_e64 v2, null, s3, 0, s2
	s_mov_b32 s3, 0
	s_lshl_b32 s16, s11, 1
.LBB9_3:                                ; =>This Inner Loop Header: Depth=1
	global_load_u16 v5, v[1:2], off
	v_add_nc_u32_e32 v4, s11, v4
	v_add_co_u32 v1, vcc_lo, v1, s16
	v_add_co_ci_u32_e32 v2, vcc_lo, 0, v2, vcc_lo
	s_delay_alu instid0(VALU_DEP_3) | instskip(NEXT) | instid1(VALU_DEP_1)
	v_cmp_le_i32_e64 s2, s14, v4
	s_or_b32 s3, s2, s3
	s_waitcnt vmcnt(0)
	v_fma_mix_f32 v3, v5, v5, v3 op_sel_hi:[1,1,0]
	s_and_not1_b32 exec_lo, exec_lo, s3
	s_cbranch_execnz .LBB9_3
; %bb.4:
	s_or_b32 exec_lo, exec_lo, s3
.LBB9_5:
	s_delay_alu instid0(SALU_CYCLE_1)
	s_or_b32 exec_lo, exec_lo, s13
	v_cmp_gt_i32_e64 s2, s8, v0
	s_and_not1_b32 vcc_lo, exec_lo, s12
	s_cbranch_vccz .LBB9_7
	s_branch .LBB9_12
.LBB9_6:
                                        ; implicit-def: $vgpr3
	v_cmp_gt_i32_e64 s2, s8, v0
.LBB9_7:
	v_mov_b32_e32 v3, 0
	s_delay_alu instid0(VALU_DEP_2)
	s_and_saveexec_b32 s3, s2
	s_cbranch_execz .LBB9_11
; %bb.8:
	v_dual_mov_b32 v4, v0 :: v_dual_lshlrev_b32 v1, 1, v0
	s_add_u32 s2, s4, s6
	s_addc_u32 s4, s5, s7
	v_mov_b32_e32 v3, 0
	s_delay_alu instid0(VALU_DEP_2) | instskip(NEXT) | instid1(VALU_DEP_1)
	v_add_co_u32 v1, s2, s2, v1
	v_add_co_ci_u32_e64 v2, null, s4, 0, s2
	s_mov_b32 s4, 0
	s_lshl_b32 s5, s11, 1
.LBB9_9:                                ; =>This Inner Loop Header: Depth=1
	global_load_u16 v5, v[1:2], off
	v_add_nc_u32_e32 v4, s11, v4
	v_add_co_u32 v1, vcc_lo, v1, s5
	v_add_co_ci_u32_e32 v2, vcc_lo, 0, v2, vcc_lo
	s_delay_alu instid0(VALU_DEP_3) | instskip(NEXT) | instid1(VALU_DEP_1)
	v_cmp_le_i32_e64 s2, s8, v4
	s_or_b32 s4, s2, s4
	s_waitcnt vmcnt(0)
	v_fma_mix_f32 v3, v5, v5, v3 op_sel_hi:[1,1,0]
	s_and_not1_b32 exec_lo, exec_lo, s4
	s_cbranch_execnz .LBB9_9
; %bb.10:
	s_or_b32 exec_lo, exec_lo, s4
.LBB9_11:
	s_delay_alu instid0(SALU_CYCLE_1)
	s_or_b32 exec_lo, exec_lo, s3
.LBB9_12:
	v_mbcnt_lo_u32_b32 v1, -1, 0
	s_mov_b32 s2, exec_lo
	s_delay_alu instid0(VALU_DEP_1) | instskip(SKIP_2) | instid1(VALU_DEP_2)
	v_cmp_ne_u32_e32 vcc_lo, 31, v1
	v_add_co_ci_u32_e32 v2, vcc_lo, 0, v1, vcc_lo
	v_cmp_gt_u32_e32 vcc_lo, 30, v1
	v_lshlrev_b32_e32 v2, 2, v2
	v_cndmask_b32_e64 v6, 0, 1, vcc_lo
	ds_bpermute_b32 v5, v2, v3
	s_waitcnt lgkmcnt(0)
	v_dual_add_f32 v7, v3, v5 :: v_dual_and_b32 v4, 0x3e0, v0
	s_delay_alu instid0(VALU_DEP_1) | instskip(SKIP_1) | instid1(VALU_DEP_1)
	v_sub_nc_u32_e64 v12, s11, v4 clamp
	v_add_nc_u32_e32 v4, 1, v1
	v_cmp_lt_u32_e32 vcc_lo, v4, v12
	s_delay_alu instid0(VALU_DEP_4) | instskip(SKIP_2) | instid1(VALU_DEP_1)
	v_cndmask_b32_e32 v7, v3, v7, vcc_lo
	v_cmp_gt_u32_e32 vcc_lo, 28, v1
	v_cndmask_b32_e64 v3, 0, 1, vcc_lo
	v_lshlrev_b32_e32 v8, 2, v3
	v_add_nc_u32_e32 v3, 2, v1
	s_delay_alu instid0(VALU_DEP_1) | instskip(SKIP_1) | instid1(VALU_DEP_1)
	v_cmp_lt_u32_e32 vcc_lo, v3, v12
	v_lshlrev_b32_e32 v6, 1, v6
	v_add_lshl_u32 v5, v6, v1, 2
	ds_bpermute_b32 v6, v5, v7
	s_waitcnt lgkmcnt(0)
	v_add_f32_e32 v9, v7, v6
	v_add_lshl_u32 v6, v8, v1, 2
	s_delay_alu instid0(VALU_DEP_2) | instskip(SKIP_3) | instid1(VALU_DEP_1)
	v_cndmask_b32_e32 v9, v7, v9, vcc_lo
	v_cmp_gt_u32_e32 vcc_lo, 24, v1
	ds_bpermute_b32 v8, v6, v9
	v_cndmask_b32_e64 v7, 0, 1, vcc_lo
	v_lshlrev_b32_e32 v10, 3, v7
	v_add_nc_u32_e32 v7, 4, v1
	s_delay_alu instid0(VALU_DEP_1) | instskip(SKIP_3) | instid1(VALU_DEP_2)
	v_cmp_lt_u32_e32 vcc_lo, v7, v12
	s_waitcnt lgkmcnt(0)
	v_add_f32_e32 v11, v9, v8
	v_add_lshl_u32 v8, v10, v1, 2
	v_cndmask_b32_e32 v11, v9, v11, vcc_lo
	v_cmp_gt_u32_e32 vcc_lo, 16, v1
	ds_bpermute_b32 v10, v8, v11
	v_cndmask_b32_e64 v9, 0, 1, vcc_lo
	s_delay_alu instid0(VALU_DEP_1) | instskip(SKIP_1) | instid1(VALU_DEP_1)
	v_lshlrev_b32_e32 v13, 4, v9
	v_add_nc_u32_e32 v9, 8, v1
	v_cmp_lt_u32_e32 vcc_lo, v9, v12
	s_waitcnt lgkmcnt(0)
	v_add_f32_e32 v14, v11, v10
	v_add_lshl_u32 v10, v13, v1, 2
	s_delay_alu instid0(VALU_DEP_2)
	v_cndmask_b32_e32 v13, v11, v14, vcc_lo
	v_add_nc_u32_e32 v11, 16, v1
	ds_bpermute_b32 v14, v10, v13
	v_cmp_lt_u32_e32 vcc_lo, v11, v12
	s_waitcnt lgkmcnt(0)
	v_add_f32_e32 v14, v13, v14
	s_delay_alu instid0(VALU_DEP_1)
	v_cndmask_b32_e32 v12, v13, v14, vcc_lo
	v_cmpx_eq_u32_e32 0, v1
	s_cbranch_execz .LBB9_14
; %bb.13:
	v_lshrrev_b32_e32 v13, 3, v0
	s_delay_alu instid0(VALU_DEP_1)
	v_and_b32_e32 v13, 0x7c, v13
	ds_store_b32 v13, v12
.LBB9_14:
	s_or_b32 exec_lo, exec_lo, s2
	s_delay_alu instid0(SALU_CYCLE_1)
	s_mov_b32 s2, exec_lo
	s_waitcnt lgkmcnt(0)
	s_barrier
	buffer_gl0_inv
	v_cmpx_gt_u32_e32 32, v0
	s_cbranch_execz .LBB9_16
; %bb.15:
	v_lshlrev_b32_e32 v1, 2, v1
	s_add_i32 s3, s11, 31
	s_delay_alu instid0(SALU_CYCLE_1) | instskip(NEXT) | instid1(SALU_CYCLE_1)
	s_lshr_b32 s3, s3, 5
	v_cmp_gt_u32_e32 vcc_lo, s3, v4
	ds_load_b32 v1, v1
	s_waitcnt lgkmcnt(0)
	ds_bpermute_b32 v2, v2, v1
	s_waitcnt lgkmcnt(0)
	v_add_f32_e32 v2, v1, v2
	s_delay_alu instid0(VALU_DEP_1) | instskip(SKIP_4) | instid1(VALU_DEP_1)
	v_cndmask_b32_e32 v1, v1, v2, vcc_lo
	v_cmp_gt_u32_e32 vcc_lo, s3, v3
	ds_bpermute_b32 v2, v5, v1
	s_waitcnt lgkmcnt(0)
	v_add_f32_e32 v2, v1, v2
	v_cndmask_b32_e32 v1, v1, v2, vcc_lo
	v_cmp_gt_u32_e32 vcc_lo, s3, v7
	ds_bpermute_b32 v2, v6, v1
	s_waitcnt lgkmcnt(0)
	v_add_f32_e32 v2, v1, v2
	s_delay_alu instid0(VALU_DEP_1) | instskip(SKIP_4) | instid1(VALU_DEP_1)
	v_cndmask_b32_e32 v1, v1, v2, vcc_lo
	v_cmp_gt_u32_e32 vcc_lo, s3, v9
	ds_bpermute_b32 v2, v8, v1
	s_waitcnt lgkmcnt(0)
	v_add_f32_e32 v2, v1, v2
	v_cndmask_b32_e32 v1, v1, v2, vcc_lo
	v_cmp_gt_u32_e32 vcc_lo, s3, v11
	ds_bpermute_b32 v2, v10, v1
	s_waitcnt lgkmcnt(0)
	v_add_f32_e32 v2, v1, v2
	s_delay_alu instid0(VALU_DEP_1)
	v_cndmask_b32_e32 v12, v1, v2, vcc_lo
.LBB9_16:
	s_or_b32 exec_lo, exec_lo, s2
	s_delay_alu instid0(SALU_CYCLE_1)
	s_mov_b32 s2, exec_lo
	v_cmpx_eq_u32_e32 0, v0
	s_cbranch_execz .LBB9_18
; %bb.17:
	v_cvt_f32_i32_e32 v1, s8
	s_load_b32 s3, s[0:1], 0x40
	s_delay_alu instid0(VALU_DEP_1) | instskip(SKIP_1) | instid1(VALU_DEP_2)
	v_div_scale_f32 v2, null, v1, v1, v12
	v_div_scale_f32 v5, vcc_lo, v12, v1, v12
	v_rcp_f32_e32 v3, v2
	s_waitcnt_depctr 0xfff
	v_fma_f32 v4, -v2, v3, 1.0
	s_delay_alu instid0(VALU_DEP_1) | instskip(NEXT) | instid1(VALU_DEP_1)
	v_fmac_f32_e32 v3, v4, v3
	v_mul_f32_e32 v4, v5, v3
	s_delay_alu instid0(VALU_DEP_1) | instskip(NEXT) | instid1(VALU_DEP_1)
	v_fma_f32 v6, -v2, v4, v5
	v_fmac_f32_e32 v4, v6, v3
	s_delay_alu instid0(VALU_DEP_1) | instskip(NEXT) | instid1(VALU_DEP_1)
	v_fma_f32 v2, -v2, v4, v5
	v_div_fmas_f32 v2, v2, v3, v4
	s_delay_alu instid0(VALU_DEP_1) | instskip(SKIP_1) | instid1(VALU_DEP_1)
	v_div_fixup_f32 v1, v2, v1, v12
	s_waitcnt lgkmcnt(0)
	v_add_f32_e32 v1, s3, v1
	s_delay_alu instid0(VALU_DEP_1) | instskip(SKIP_1) | instid1(VALU_DEP_2)
	v_mul_f32_e32 v2, 0x4b800000, v1
	v_cmp_gt_f32_e32 vcc_lo, 0x800000, v1
	v_cndmask_b32_e32 v1, v1, v2, vcc_lo
	s_delay_alu instid0(VALU_DEP_1) | instskip(SKIP_2) | instid1(VALU_DEP_1)
	v_rsq_f32_e32 v1, v1
	s_waitcnt_depctr 0xfff
	v_mul_f32_e32 v2, 0x45800000, v1
	v_dual_cndmask_b32 v1, v1, v2 :: v_dual_mov_b32 v2, 0
	ds_store_b32 v2, v1 offset:128
.LBB9_18:
	s_or_b32 exec_lo, exec_lo, s2
	s_waitcnt lgkmcnt(0)
	s_barrier
	buffer_gl0_inv
	s_mov_b32 s2, exec_lo
	v_cmpx_gt_i32_e64 s8, v0
	s_cbranch_execz .LBB9_21
; %bb.19:
	v_mov_b32_e32 v1, 0
	s_clause 0x1
	s_load_b64 s[4:5], s[0:1], 0x0
	s_load_b64 s[2:3], s[0:1], 0x38
	s_mul_i32 s0, s15, s8
	s_mov_b32 s1, 0
	s_delay_alu instid0(SALU_CYCLE_1)
	s_lshl_b64 s[6:7], s[0:1], 1
	ds_load_b32 v2, v1 offset:128
	s_waitcnt lgkmcnt(0)
	s_add_u32 s4, s4, s6
	s_addc_u32 s5, s5, s7
	.p2align	6
.LBB9_20:                               ; =>This Inner Loop Header: Depth=1
	v_ashrrev_i32_e32 v1, 31, v0
	s_delay_alu instid0(VALU_DEP_1) | instskip(SKIP_1) | instid1(VALU_DEP_2)
	v_lshlrev_b64 v[3:4], 1, v[0:1]
	v_add_nc_u32_e32 v0, s11, v0
	v_add_co_u32 v5, vcc_lo, s9, v3
	s_delay_alu instid0(VALU_DEP_3)
	v_add_co_ci_u32_e32 v6, vcc_lo, s10, v4, vcc_lo
	v_add_co_u32 v7, vcc_lo, s2, v3
	v_add_co_ci_u32_e32 v8, vcc_lo, s3, v4, vcc_lo
	v_cmp_le_i32_e32 vcc_lo, s8, v0
	global_load_u16 v1, v[5:6], off
	global_load_u16 v5, v[7:8], off
	v_add_co_u32 v3, s0, s4, v3
	s_delay_alu instid0(VALU_DEP_1) | instskip(SKIP_4) | instid1(VALU_DEP_1)
	v_add_co_ci_u32_e64 v4, s0, s5, v4, s0
	s_or_b32 s1, vcc_lo, s1
	s_waitcnt vmcnt(1)
	v_fma_mixlo_f16 v1, v2, v1, 0 op_sel_hi:[0,1,0]
	s_waitcnt vmcnt(0)
	v_mul_f16_e32 v1, v5, v1
	global_store_b16 v[3:4], v1, off
	s_and_not1_b32 exec_lo, exec_lo, s1
	s_cbranch_execnz .LBB9_20
.LBB9_21:
	s_nop 0
	s_sendmsg sendmsg(MSG_DEALLOC_VGPRS)
	s_endpgm
	.section	.rodata,"a",@progbits
	.p2align	6, 0x0
	.amdhsa_kernel _ZN4vllm15rms_norm_kernelIN3c104HalfELi1ELi2EEEvPT_PKS3_lllllS6_fii
		.amdhsa_group_segment_fixed_size 132
		.amdhsa_private_segment_fixed_size 0
		.amdhsa_kernarg_size 336
		.amdhsa_user_sgpr_count 15
		.amdhsa_user_sgpr_dispatch_ptr 0
		.amdhsa_user_sgpr_queue_ptr 0
		.amdhsa_user_sgpr_kernarg_segment_ptr 1
		.amdhsa_user_sgpr_dispatch_id 0
		.amdhsa_user_sgpr_private_segment_size 0
		.amdhsa_wavefront_size32 1
		.amdhsa_uses_dynamic_stack 0
		.amdhsa_enable_private_segment 0
		.amdhsa_system_sgpr_workgroup_id_x 1
		.amdhsa_system_sgpr_workgroup_id_y 0
		.amdhsa_system_sgpr_workgroup_id_z 0
		.amdhsa_system_sgpr_workgroup_info 0
		.amdhsa_system_vgpr_workitem_id 0
		.amdhsa_next_free_vgpr 15
		.amdhsa_next_free_sgpr 17
		.amdhsa_reserve_vcc 1
		.amdhsa_float_round_mode_32 0
		.amdhsa_float_round_mode_16_64 0
		.amdhsa_float_denorm_mode_32 3
		.amdhsa_float_denorm_mode_16_64 3
		.amdhsa_dx10_clamp 1
		.amdhsa_ieee_mode 1
		.amdhsa_fp16_overflow 0
		.amdhsa_workgroup_processor_mode 1
		.amdhsa_memory_ordered 1
		.amdhsa_forward_progress 0
		.amdhsa_shared_vgpr_count 0
		.amdhsa_exception_fp_ieee_invalid_op 0
		.amdhsa_exception_fp_denorm_src 0
		.amdhsa_exception_fp_ieee_div_zero 0
		.amdhsa_exception_fp_ieee_overflow 0
		.amdhsa_exception_fp_ieee_underflow 0
		.amdhsa_exception_fp_ieee_inexact 0
		.amdhsa_exception_int_div_zero 0
	.end_amdhsa_kernel
	.section	.text._ZN4vllm15rms_norm_kernelIN3c104HalfELi1ELi2EEEvPT_PKS3_lllllS6_fii,"axG",@progbits,_ZN4vllm15rms_norm_kernelIN3c104HalfELi1ELi2EEEvPT_PKS3_lllllS6_fii,comdat
.Lfunc_end9:
	.size	_ZN4vllm15rms_norm_kernelIN3c104HalfELi1ELi2EEEvPT_PKS3_lllllS6_fii, .Lfunc_end9-_ZN4vllm15rms_norm_kernelIN3c104HalfELi1ELi2EEEvPT_PKS3_lllllS6_fii
                                        ; -- End function
	.section	.AMDGPU.csdata,"",@progbits
; Kernel info:
; codeLenInByte = 1396
; NumSgprs: 19
; NumVgprs: 15
; ScratchSize: 0
; MemoryBound: 0
; FloatMode: 240
; IeeeMode: 1
; LDSByteSize: 132 bytes/workgroup (compile time only)
; SGPRBlocks: 2
; VGPRBlocks: 1
; NumSGPRsForWavesPerEU: 19
; NumVGPRsForWavesPerEU: 15
; Occupancy: 16
; WaveLimiterHint : 0
; COMPUTE_PGM_RSRC2:SCRATCH_EN: 0
; COMPUTE_PGM_RSRC2:USER_SGPR: 15
; COMPUTE_PGM_RSRC2:TRAP_HANDLER: 0
; COMPUTE_PGM_RSRC2:TGID_X_EN: 1
; COMPUTE_PGM_RSRC2:TGID_Y_EN: 0
; COMPUTE_PGM_RSRC2:TGID_Z_EN: 0
; COMPUTE_PGM_RSRC2:TIDIG_COMP_CNT: 0
	.section	.text._ZN4vllm15rms_norm_kernelIN3c108BFloat16ELi16ELi2EEEvPT_PKS3_lllllS6_fii,"axG",@progbits,_ZN4vllm15rms_norm_kernelIN3c108BFloat16ELi16ELi2EEEvPT_PKS3_lllllS6_fii,comdat
	.protected	_ZN4vllm15rms_norm_kernelIN3c108BFloat16ELi16ELi2EEEvPT_PKS3_lllllS6_fii ; -- Begin function _ZN4vllm15rms_norm_kernelIN3c108BFloat16ELi16ELi2EEEvPT_PKS3_lllllS6_fii
	.globl	_ZN4vllm15rms_norm_kernelIN3c108BFloat16ELi16ELi2EEEvPT_PKS3_lllllS6_fii
	.p2align	8
	.type	_ZN4vllm15rms_norm_kernelIN3c108BFloat16ELi16ELi2EEEvPT_PKS3_lllllS6_fii,@function
_ZN4vllm15rms_norm_kernelIN3c108BFloat16ELi16ELi2EEEvPT_PKS3_lllllS6_fii: ; @_ZN4vllm15rms_norm_kernelIN3c108BFloat16ELi16ELi2EEEvPT_PKS3_lllllS6_fii
; %bb.0:
	s_clause 0x2
	s_load_b128 s[4:7], s[0:1], 0x8
	s_load_b32 s2, s[0:1], 0x5c
	s_load_b32 s3, s[0:1], 0x48
	s_mov_b32 s9, 0
	s_waitcnt lgkmcnt(0)
	s_mul_i32 s7, s15, s7
	s_mul_hi_u32 s8, s15, s6
	s_mul_i32 s6, s15, s6
	s_add_i32 s7, s8, s7
	s_delay_alu instid0(SALU_CYCLE_1) | instskip(NEXT) | instid1(SALU_CYCLE_1)
	s_lshl_b64 s[6:7], s[6:7], 1
	s_add_u32 s20, s4, s6
	s_addc_u32 s21, s5, s7
	s_and_b32 s8, s20, 31
	s_and_b32 s22, s2, 0xffff
	s_cmp_lg_u64 s[8:9], 0
	s_cselect_b32 s2, -1, 0
	s_and_b32 s8, s3, 15
	s_delay_alu instid0(SALU_CYCLE_1) | instskip(SKIP_1) | instid1(SALU_CYCLE_1)
	s_cmp_lg_u32 s8, 0
	s_cselect_b32 s8, -1, 0
	s_or_b32 s2, s2, s8
	s_delay_alu instid0(SALU_CYCLE_1)
	s_and_b32 vcc_lo, exec_lo, s2
	s_cbranch_vccz .LBB10_14
; %bb.1:
	s_sub_i32 s2, 0, s20
	v_mov_b32_e32 v4, 0
	s_bfe_u32 s2, s2, 0x40001
	s_mov_b32 s9, exec_lo
	s_min_i32 s8, s2, s3
	s_delay_alu instid0(SALU_CYCLE_1)
	v_cmpx_gt_i32_e64 s8, v0
	s_cbranch_execz .LBB10_5
; %bb.2:
	v_dual_mov_b32 v4, 0 :: v_dual_lshlrev_b32 v1, 1, v0
	s_add_u32 s2, s4, s6
	s_addc_u32 s10, s5, s7
	v_mov_b32_e32 v3, v0
	s_delay_alu instid0(VALU_DEP_2) | instskip(NEXT) | instid1(VALU_DEP_1)
	v_add_co_u32 v1, s2, s2, v1
	v_add_co_ci_u32_e64 v2, null, s10, 0, s2
	s_mov_b32 s10, 0
	s_lshl_b32 s11, s22, 1
.LBB10_3:                               ; =>This Inner Loop Header: Depth=1
	global_load_u16 v5, v[1:2], off
	v_add_co_u32 v1, vcc_lo, v1, s11
	v_add_co_ci_u32_e32 v2, vcc_lo, 0, v2, vcc_lo
	s_waitcnt vmcnt(0)
	v_lshlrev_b32_e32 v5, 16, v5
	s_delay_alu instid0(VALU_DEP_1) | instskip(NEXT) | instid1(VALU_DEP_1)
	v_dual_fmac_f32 v4, v5, v5 :: v_dual_add_nc_u32 v3, s22, v3
	v_cmp_le_i32_e64 s2, s8, v3
	s_delay_alu instid0(VALU_DEP_1) | instskip(NEXT) | instid1(SALU_CYCLE_1)
	s_or_b32 s10, s2, s10
	s_and_not1_b32 exec_lo, exec_lo, s10
	s_cbranch_execnz .LBB10_3
; %bb.4:
	s_or_b32 exec_lo, exec_lo, s10
.LBB10_5:
	s_delay_alu instid0(SALU_CYCLE_1)
	s_or_b32 exec_lo, exec_lo, s9
	s_sub_i32 s10, s3, s8
	s_ashr_i32 s9, s8, 31
	s_ashr_i32 s2, s10, 31
	s_mov_b32 s12, exec_lo
	s_lshr_b32 s2, s2, 28
	s_delay_alu instid0(SALU_CYCLE_1) | instskip(NEXT) | instid1(SALU_CYCLE_1)
	s_add_i32 s2, s10, s2
	s_ashr_i32 s11, s2, 4
	s_delay_alu instid0(SALU_CYCLE_1)
	v_cmpx_gt_i32_e64 s11, v0
	s_cbranch_execz .LBB10_9
; %bb.6:
	s_lshl_b64 s[16:17], s[8:9], 1
	v_lshlrev_b32_e32 v1, 5, v0
	s_add_u32 s2, s4, s16
	s_addc_u32 s13, s5, s17
	s_add_u32 s2, s2, s6
	s_addc_u32 s13, s13, s7
	v_add_co_u32 v1, s2, s2, v1
	s_delay_alu instid0(VALU_DEP_1)
	v_add_co_ci_u32_e64 v2, null, s13, 0, s2
	v_mov_b32_e32 v3, v0
	s_mov_b32 s13, 0
	s_lshl_b32 s14, s22, 5
.LBB10_7:                               ; =>This Inner Loop Header: Depth=1
	s_clause 0x1
	global_load_b128 v[5:8], v[1:2], off
	global_load_b128 v[9:12], v[1:2], off offset:16
	v_add_co_u32 v1, vcc_lo, v1, s14
	v_add_co_ci_u32_e32 v2, vcc_lo, 0, v2, vcc_lo
	v_add_nc_u32_e32 v3, s22, v3
	s_delay_alu instid0(VALU_DEP_1) | instskip(NEXT) | instid1(VALU_DEP_1)
	v_cmp_le_i32_e64 s2, s11, v3
	s_or_b32 s13, s2, s13
	s_waitcnt vmcnt(1)
	v_lshlrev_b32_e32 v13, 16, v5
	v_and_b32_e32 v5, 0xffff0000, v5
	s_delay_alu instid0(VALU_DEP_2) | instskip(NEXT) | instid1(VALU_DEP_1)
	v_dual_fmac_f32 v4, v13, v13 :: v_dual_lshlrev_b32 v13, 16, v6
	v_dual_fmac_f32 v4, v5, v5 :: v_dual_and_b32 v5, 0xffff0000, v6
	v_lshlrev_b32_e32 v6, 16, v7
	s_delay_alu instid0(VALU_DEP_2) | instskip(NEXT) | instid1(VALU_DEP_1)
	v_fmac_f32_e32 v4, v13, v13
	v_dual_fmac_f32 v4, v5, v5 :: v_dual_and_b32 v5, 0xffff0000, v7
	s_delay_alu instid0(VALU_DEP_1) | instskip(SKIP_1) | instid1(VALU_DEP_2)
	v_fmac_f32_e32 v4, v6, v6
	v_lshlrev_b32_e32 v6, 16, v8
	v_dual_fmac_f32 v4, v5, v5 :: v_dual_and_b32 v5, 0xffff0000, v8
	s_delay_alu instid0(VALU_DEP_1) | instskip(SKIP_2) | instid1(VALU_DEP_2)
	v_fmac_f32_e32 v4, v6, v6
	s_waitcnt vmcnt(0)
	v_lshlrev_b32_e32 v6, 16, v9
	v_fmac_f32_e32 v4, v5, v5
	s_delay_alu instid0(VALU_DEP_1) | instskip(SKIP_1) | instid1(VALU_DEP_2)
	v_dual_fmac_f32 v4, v6, v6 :: v_dual_and_b32 v5, 0xffff0000, v9
	v_lshlrev_b32_e32 v6, 16, v10
	v_dual_fmac_f32 v4, v5, v5 :: v_dual_and_b32 v5, 0xffff0000, v10
	s_delay_alu instid0(VALU_DEP_1) | instskip(SKIP_1) | instid1(VALU_DEP_2)
	v_fmac_f32_e32 v4, v6, v6
	v_lshlrev_b32_e32 v6, 16, v11
	v_dual_fmac_f32 v4, v5, v5 :: v_dual_and_b32 v5, 0xffff0000, v11
	s_delay_alu instid0(VALU_DEP_1) | instskip(SKIP_1) | instid1(VALU_DEP_2)
	v_fmac_f32_e32 v4, v6, v6
	v_lshlrev_b32_e32 v6, 16, v12
	v_dual_fmac_f32 v4, v5, v5 :: v_dual_and_b32 v5, 0xffff0000, v12
	s_delay_alu instid0(VALU_DEP_1) | instskip(NEXT) | instid1(VALU_DEP_1)
	v_fmac_f32_e32 v4, v6, v6
	v_fmac_f32_e32 v4, v5, v5
	s_and_not1_b32 exec_lo, exec_lo, s13
	s_cbranch_execnz .LBB10_7
; %bb.8:
	s_or_b32 exec_lo, exec_lo, s13
.LBB10_9:
	s_delay_alu instid0(SALU_CYCLE_1) | instskip(SKIP_2) | instid1(VALU_DEP_1)
	s_or_b32 exec_lo, exec_lo, s12
	v_lshl_add_u32 v1, s11, 4, v0
	s_mov_b32 s11, exec_lo
	v_cmpx_gt_i32_e64 s10, v1
	s_cbranch_execz .LBB10_13
; %bb.10:
	v_ashrrev_i32_e32 v2, 31, v1
	s_lshl_b64 s[8:9], s[8:9], 1
	s_delay_alu instid0(SALU_CYCLE_1) | instskip(SKIP_1) | instid1(VALU_DEP_1)
	s_add_u32 s2, s6, s8
	s_addc_u32 s8, s7, s9
	v_lshlrev_b64 v[2:3], 1, v[1:2]
	s_add_u32 s2, s4, s2
	s_addc_u32 s8, s5, s8
	s_lshl_b32 s9, s22, 1
	s_delay_alu instid0(VALU_DEP_1) | instskip(NEXT) | instid1(VALU_DEP_2)
	v_add_co_u32 v2, vcc_lo, s2, v2
	v_add_co_ci_u32_e32 v3, vcc_lo, s8, v3, vcc_lo
	s_mov_b32 s8, 0
.LBB10_11:                              ; =>This Inner Loop Header: Depth=1
	global_load_u16 v5, v[2:3], off
	v_add_nc_u32_e32 v1, s22, v1
	v_add_co_u32 v2, vcc_lo, v2, s9
	v_add_co_ci_u32_e32 v3, vcc_lo, 0, v3, vcc_lo
	s_delay_alu instid0(VALU_DEP_3) | instskip(NEXT) | instid1(VALU_DEP_1)
	v_cmp_le_i32_e64 s2, s10, v1
	s_or_b32 s8, s2, s8
	s_waitcnt vmcnt(0)
	v_lshlrev_b32_e32 v5, 16, v5
	s_delay_alu instid0(VALU_DEP_1)
	v_fmac_f32_e32 v4, v5, v5
	s_and_not1_b32 exec_lo, exec_lo, s8
	s_cbranch_execnz .LBB10_11
; %bb.12:
	s_or_b32 exec_lo, exec_lo, s8
.LBB10_13:
	s_delay_alu instid0(SALU_CYCLE_1)
	s_or_b32 exec_lo, exec_lo, s11
	s_branch .LBB10_20
.LBB10_14:
                                        ; implicit-def: $vgpr4
	s_cbranch_execz .LBB10_20
; %bb.15:
	v_mov_b32_e32 v4, 0
	s_ashr_i32 s9, s3, 4
	s_mov_b32 s8, exec_lo
	v_cmpx_gt_i32_e64 s9, v0
	s_cbranch_execz .LBB10_19
; %bb.16:
	v_dual_mov_b32 v4, 0 :: v_dual_lshlrev_b32 v1, 5, v0
	s_add_u32 s2, s4, s6
	s_addc_u32 s4, s5, s7
	v_mov_b32_e32 v3, v0
	s_delay_alu instid0(VALU_DEP_2) | instskip(NEXT) | instid1(VALU_DEP_1)
	v_add_co_u32 v1, s2, s2, v1
	v_add_co_ci_u32_e64 v2, null, s4, 0, s2
	s_mov_b32 s4, 0
	s_lshl_b32 s5, s22, 5
.LBB10_17:                              ; =>This Inner Loop Header: Depth=1
	s_clause 0x1
	global_load_b128 v[5:8], v[1:2], off
	global_load_b128 v[9:12], v[1:2], off offset:16
	v_add_co_u32 v1, vcc_lo, v1, s5
	v_add_co_ci_u32_e32 v2, vcc_lo, 0, v2, vcc_lo
	v_add_nc_u32_e32 v3, s22, v3
	s_delay_alu instid0(VALU_DEP_1) | instskip(NEXT) | instid1(VALU_DEP_1)
	v_cmp_le_i32_e64 s2, s9, v3
	s_or_b32 s4, s2, s4
	s_waitcnt vmcnt(1)
	v_lshlrev_b32_e32 v13, 16, v5
	v_and_b32_e32 v5, 0xffff0000, v5
	s_delay_alu instid0(VALU_DEP_2) | instskip(NEXT) | instid1(VALU_DEP_1)
	v_dual_fmac_f32 v4, v13, v13 :: v_dual_lshlrev_b32 v13, 16, v6
	v_dual_fmac_f32 v4, v5, v5 :: v_dual_and_b32 v5, 0xffff0000, v6
	v_lshlrev_b32_e32 v6, 16, v7
	s_delay_alu instid0(VALU_DEP_2) | instskip(NEXT) | instid1(VALU_DEP_1)
	v_fmac_f32_e32 v4, v13, v13
	v_dual_fmac_f32 v4, v5, v5 :: v_dual_and_b32 v5, 0xffff0000, v7
	s_delay_alu instid0(VALU_DEP_1) | instskip(SKIP_1) | instid1(VALU_DEP_2)
	v_fmac_f32_e32 v4, v6, v6
	v_lshlrev_b32_e32 v6, 16, v8
	v_dual_fmac_f32 v4, v5, v5 :: v_dual_and_b32 v5, 0xffff0000, v8
	s_delay_alu instid0(VALU_DEP_1) | instskip(SKIP_2) | instid1(VALU_DEP_2)
	v_fmac_f32_e32 v4, v6, v6
	s_waitcnt vmcnt(0)
	v_lshlrev_b32_e32 v6, 16, v9
	v_fmac_f32_e32 v4, v5, v5
	s_delay_alu instid0(VALU_DEP_1) | instskip(SKIP_1) | instid1(VALU_DEP_2)
	v_dual_fmac_f32 v4, v6, v6 :: v_dual_and_b32 v5, 0xffff0000, v9
	v_lshlrev_b32_e32 v6, 16, v10
	v_dual_fmac_f32 v4, v5, v5 :: v_dual_and_b32 v5, 0xffff0000, v10
	s_delay_alu instid0(VALU_DEP_1) | instskip(SKIP_1) | instid1(VALU_DEP_2)
	v_fmac_f32_e32 v4, v6, v6
	v_lshlrev_b32_e32 v6, 16, v11
	v_dual_fmac_f32 v4, v5, v5 :: v_dual_and_b32 v5, 0xffff0000, v11
	s_delay_alu instid0(VALU_DEP_1) | instskip(SKIP_1) | instid1(VALU_DEP_2)
	v_fmac_f32_e32 v4, v6, v6
	v_lshlrev_b32_e32 v6, 16, v12
	v_dual_fmac_f32 v4, v5, v5 :: v_dual_and_b32 v5, 0xffff0000, v12
	s_delay_alu instid0(VALU_DEP_1) | instskip(NEXT) | instid1(VALU_DEP_1)
	v_fmac_f32_e32 v4, v6, v6
	v_fmac_f32_e32 v4, v5, v5
	s_and_not1_b32 exec_lo, exec_lo, s4
	s_cbranch_execnz .LBB10_17
; %bb.18:
	s_or_b32 exec_lo, exec_lo, s4
.LBB10_19:
	s_delay_alu instid0(SALU_CYCLE_1)
	s_or_b32 exec_lo, exec_lo, s8
.LBB10_20:
	v_mbcnt_lo_u32_b32 v1, -1, 0
	v_and_b32_e32 v3, 0x3e0, v0
	s_mov_b32 s2, exec_lo
	s_delay_alu instid0(VALU_DEP_2) | instskip(NEXT) | instid1(VALU_DEP_2)
	v_cmp_ne_u32_e32 vcc_lo, 31, v1
	v_sub_nc_u32_e64 v12, s22, v3 clamp
	v_add_nc_u32_e32 v3, 1, v1
	v_add_co_ci_u32_e32 v2, vcc_lo, 0, v1, vcc_lo
	v_cmp_gt_u32_e32 vcc_lo, 30, v1
	s_delay_alu instid0(VALU_DEP_2)
	v_lshlrev_b32_e32 v2, 2, v2
	v_cndmask_b32_e64 v6, 0, 1, vcc_lo
	v_cmp_lt_u32_e32 vcc_lo, v3, v12
	ds_bpermute_b32 v5, v2, v4
	s_waitcnt lgkmcnt(0)
	v_dual_add_f32 v7, v4, v5 :: v_dual_lshlrev_b32 v6, 1, v6
	s_delay_alu instid0(VALU_DEP_1) | instskip(NEXT) | instid1(VALU_DEP_2)
	v_cndmask_b32_e32 v7, v4, v7, vcc_lo
	v_add_lshl_u32 v5, v6, v1, 2
	v_cmp_gt_u32_e32 vcc_lo, 28, v1
	ds_bpermute_b32 v6, v5, v7
	v_cndmask_b32_e64 v4, 0, 1, vcc_lo
	s_delay_alu instid0(VALU_DEP_1) | instskip(SKIP_1) | instid1(VALU_DEP_1)
	v_lshlrev_b32_e32 v8, 2, v4
	v_add_nc_u32_e32 v4, 2, v1
	v_cmp_lt_u32_e32 vcc_lo, v4, v12
	s_waitcnt lgkmcnt(0)
	v_add_f32_e32 v9, v7, v6
	v_add_lshl_u32 v6, v8, v1, 2
	s_delay_alu instid0(VALU_DEP_2) | instskip(SKIP_2) | instid1(VALU_DEP_1)
	v_cndmask_b32_e32 v9, v7, v9, vcc_lo
	v_cmp_gt_u32_e32 vcc_lo, 24, v1
	v_cndmask_b32_e64 v7, 0, 1, vcc_lo
	v_lshlrev_b32_e32 v10, 3, v7
	ds_bpermute_b32 v8, v6, v9
	v_add_nc_u32_e32 v7, 4, v1
	s_delay_alu instid0(VALU_DEP_1) | instskip(SKIP_3) | instid1(VALU_DEP_2)
	v_cmp_lt_u32_e32 vcc_lo, v7, v12
	s_waitcnt lgkmcnt(0)
	v_add_f32_e32 v11, v9, v8
	v_add_lshl_u32 v8, v10, v1, 2
	v_cndmask_b32_e32 v11, v9, v11, vcc_lo
	v_cmp_gt_u32_e32 vcc_lo, 16, v1
	ds_bpermute_b32 v10, v8, v11
	v_cndmask_b32_e64 v9, 0, 1, vcc_lo
	s_delay_alu instid0(VALU_DEP_1) | instskip(SKIP_1) | instid1(VALU_DEP_1)
	v_lshlrev_b32_e32 v13, 4, v9
	v_add_nc_u32_e32 v9, 8, v1
	v_cmp_lt_u32_e32 vcc_lo, v9, v12
	s_waitcnt lgkmcnt(0)
	v_add_f32_e32 v14, v11, v10
	v_add_lshl_u32 v10, v13, v1, 2
	s_delay_alu instid0(VALU_DEP_2)
	v_cndmask_b32_e32 v13, v11, v14, vcc_lo
	v_add_nc_u32_e32 v11, 16, v1
	ds_bpermute_b32 v14, v10, v13
	v_cmp_lt_u32_e32 vcc_lo, v11, v12
	s_waitcnt lgkmcnt(0)
	v_add_f32_e32 v14, v13, v14
	s_delay_alu instid0(VALU_DEP_1)
	v_cndmask_b32_e32 v12, v13, v14, vcc_lo
	v_cmpx_eq_u32_e32 0, v1
	s_cbranch_execz .LBB10_22
; %bb.21:
	v_lshrrev_b32_e32 v13, 3, v0
	s_delay_alu instid0(VALU_DEP_1)
	v_and_b32_e32 v13, 0x7c, v13
	ds_store_b32 v13, v12
.LBB10_22:
	s_or_b32 exec_lo, exec_lo, s2
	s_delay_alu instid0(SALU_CYCLE_1)
	s_mov_b32 s2, exec_lo
	s_waitcnt lgkmcnt(0)
	s_barrier
	buffer_gl0_inv
	v_cmpx_gt_u32_e32 32, v0
	s_cbranch_execz .LBB10_24
; %bb.23:
	v_lshlrev_b32_e32 v1, 2, v1
	s_add_i32 s4, s22, 31
	s_delay_alu instid0(SALU_CYCLE_1) | instskip(NEXT) | instid1(SALU_CYCLE_1)
	s_lshr_b32 s4, s4, 5
	v_cmp_gt_u32_e32 vcc_lo, s4, v3
	ds_load_b32 v1, v1
	s_waitcnt lgkmcnt(0)
	ds_bpermute_b32 v2, v2, v1
	s_waitcnt lgkmcnt(0)
	v_add_f32_e32 v2, v1, v2
	s_delay_alu instid0(VALU_DEP_1) | instskip(SKIP_4) | instid1(VALU_DEP_1)
	v_cndmask_b32_e32 v1, v1, v2, vcc_lo
	v_cmp_gt_u32_e32 vcc_lo, s4, v4
	ds_bpermute_b32 v2, v5, v1
	s_waitcnt lgkmcnt(0)
	v_add_f32_e32 v2, v1, v2
	v_cndmask_b32_e32 v1, v1, v2, vcc_lo
	v_cmp_gt_u32_e32 vcc_lo, s4, v7
	ds_bpermute_b32 v2, v6, v1
	s_waitcnt lgkmcnt(0)
	v_add_f32_e32 v2, v1, v2
	s_delay_alu instid0(VALU_DEP_1) | instskip(SKIP_4) | instid1(VALU_DEP_1)
	v_cndmask_b32_e32 v1, v1, v2, vcc_lo
	v_cmp_gt_u32_e32 vcc_lo, s4, v9
	ds_bpermute_b32 v2, v8, v1
	s_waitcnt lgkmcnt(0)
	v_add_f32_e32 v2, v1, v2
	v_cndmask_b32_e32 v1, v1, v2, vcc_lo
	v_cmp_gt_u32_e32 vcc_lo, s4, v11
	ds_bpermute_b32 v2, v10, v1
	s_waitcnt lgkmcnt(0)
	v_add_f32_e32 v2, v1, v2
	s_delay_alu instid0(VALU_DEP_1)
	v_cndmask_b32_e32 v12, v1, v2, vcc_lo
.LBB10_24:
	s_or_b32 exec_lo, exec_lo, s2
	s_delay_alu instid0(SALU_CYCLE_1)
	s_mov_b32 s2, exec_lo
	v_cmpx_eq_u32_e32 0, v0
	s_cbranch_execz .LBB10_26
; %bb.25:
	v_cvt_f32_i32_e32 v1, s3
	s_load_b32 s4, s[0:1], 0x40
	s_delay_alu instid0(VALU_DEP_1) | instskip(SKIP_1) | instid1(VALU_DEP_2)
	v_div_scale_f32 v2, null, v1, v1, v12
	v_div_scale_f32 v5, vcc_lo, v12, v1, v12
	v_rcp_f32_e32 v3, v2
	s_waitcnt_depctr 0xfff
	v_fma_f32 v4, -v2, v3, 1.0
	s_delay_alu instid0(VALU_DEP_1) | instskip(NEXT) | instid1(VALU_DEP_1)
	v_fmac_f32_e32 v3, v4, v3
	v_mul_f32_e32 v4, v5, v3
	s_delay_alu instid0(VALU_DEP_1) | instskip(NEXT) | instid1(VALU_DEP_1)
	v_fma_f32 v6, -v2, v4, v5
	v_fmac_f32_e32 v4, v6, v3
	s_delay_alu instid0(VALU_DEP_1) | instskip(NEXT) | instid1(VALU_DEP_1)
	v_fma_f32 v2, -v2, v4, v5
	v_div_fmas_f32 v2, v2, v3, v4
	s_delay_alu instid0(VALU_DEP_1) | instskip(SKIP_1) | instid1(VALU_DEP_1)
	v_div_fixup_f32 v1, v2, v1, v12
	s_waitcnt lgkmcnt(0)
	v_add_f32_e32 v1, s4, v1
	s_delay_alu instid0(VALU_DEP_1) | instskip(SKIP_1) | instid1(VALU_DEP_2)
	v_mul_f32_e32 v2, 0x4b800000, v1
	v_cmp_gt_f32_e32 vcc_lo, 0x800000, v1
	v_cndmask_b32_e32 v1, v1, v2, vcc_lo
	s_delay_alu instid0(VALU_DEP_1) | instskip(SKIP_2) | instid1(VALU_DEP_1)
	v_rsq_f32_e32 v1, v1
	s_waitcnt_depctr 0xfff
	v_mul_f32_e32 v2, 0x45800000, v1
	v_dual_cndmask_b32 v1, v1, v2 :: v_dual_mov_b32 v2, 0
	ds_store_b32 v2, v1 offset:128
.LBB10_26:
	s_or_b32 exec_lo, exec_lo, s2
	s_ashr_i32 s2, s3, 31
	s_waitcnt lgkmcnt(0)
	s_lshr_b32 s2, s2, 28
	s_barrier
	s_add_i32 s2, s3, s2
	buffer_gl0_inv
	s_ashr_i32 s23, s2, 4
	s_mov_b32 s2, exec_lo
	v_cmpx_gt_i32_e64 s23, v0
	s_cbranch_execz .LBB10_36
; %bb.27:
	v_cvt_f32_u32_e32 v1, s22
	s_clause 0x1
	s_load_b64 s[4:5], s[0:1], 0x0
	s_load_b64 s[16:17], s[0:1], 0x38
	s_mul_i32 s18, s15, s3
	s_mov_b32 s19, 0
	v_rcp_iflag_f32_e32 v1, v1
	s_lshl_b64 s[0:1], s[18:19], 1
	v_add_nc_u32_e32 v3, s22, v0
	s_delay_alu instid0(VALU_DEP_1) | instskip(SKIP_3) | instid1(VALU_DEP_1)
	v_cmp_gt_i32_e32 vcc_lo, s23, v3
	v_max_i32_e32 v4, s23, v3
	s_waitcnt_depctr 0xfff
	v_mul_f32_e32 v1, 0x4f7ffffe, v1
	v_cvt_u32_f32_e32 v1, v1
	s_waitcnt lgkmcnt(0)
	s_add_u32 s18, s4, s0
	s_addc_u32 s24, s5, s1
	s_sub_i32 s0, 0, s22
	s_cmp_lg_u32 s22, 1
	v_mul_lo_u32 v2, s0, v1
	v_add_co_ci_u32_e64 v3, s0, s22, v0, vcc_lo
	s_delay_alu instid0(VALU_DEP_1) | instskip(NEXT) | instid1(VALU_DEP_3)
	v_sub_nc_u32_e32 v3, v4, v3
	v_mul_hi_u32 v2, v1, v2
	s_delay_alu instid0(VALU_DEP_1) | instskip(NEXT) | instid1(VALU_DEP_1)
	v_add_nc_u32_e32 v1, v1, v2
	v_mul_hi_u32 v1, v3, v1
	s_delay_alu instid0(VALU_DEP_1) | instskip(NEXT) | instid1(VALU_DEP_1)
	v_mul_lo_u32 v2, v1, s22
	v_sub_nc_u32_e32 v2, v3, v2
	v_add_nc_u32_e32 v3, 1, v1
	s_delay_alu instid0(VALU_DEP_2) | instskip(SKIP_1) | instid1(VALU_DEP_1)
	v_subrev_nc_u32_e32 v4, s22, v2
	v_cmp_le_u32_e64 s0, s22, v2
	v_cndmask_b32_e64 v1, v1, v3, s0
	s_delay_alu instid0(VALU_DEP_3) | instskip(NEXT) | instid1(VALU_DEP_2)
	v_cndmask_b32_e64 v2, v2, v4, s0
	v_dual_mov_b32 v3, 0 :: v_dual_add_nc_u32 v4, 1, v1
	s_delay_alu instid0(VALU_DEP_2) | instskip(SKIP_3) | instid1(VALU_DEP_1)
	v_cmp_le_u32_e64 s0, s22, v2
	ds_load_b32 v9, v3 offset:128
	v_cndmask_b32_e64 v1, v1, v4, s0
	s_cselect_b32 s0, -1, 0
	v_add_co_ci_u32_e32 v10, vcc_lo, 1, v1, vcc_lo
	s_delay_alu instid0(VALU_DEP_1) | instskip(SKIP_1) | instid1(SALU_CYCLE_1)
	v_cmp_gt_u32_e32 vcc_lo, 2, v10
	s_or_b32 s0, vcc_lo, s0
	s_and_saveexec_b32 s1, s0
	s_delay_alu instid0(SALU_CYCLE_1)
	s_xor_b32 s0, exec_lo, s1
	s_cbranch_execnz .LBB10_30
; %bb.28:
	s_and_not1_saveexec_b32 s25, s0
	s_cbranch_execnz .LBB10_31
.LBB10_29:
	s_or_b32 exec_lo, exec_lo, s25
	s_delay_alu instid0(SALU_CYCLE_1)
	s_and_b32 exec_lo, exec_lo, s19
	s_cbranch_execnz .LBB10_34
	s_branch .LBB10_36
.LBB10_30:
	s_mov_b32 s19, exec_lo
                                        ; implicit-def: $vgpr10
	s_and_not1_saveexec_b32 s25, s0
	s_cbranch_execz .LBB10_29
.LBB10_31:
	v_dual_mov_b32 v2, 0 :: v_dual_and_b32 v11, -2, v10
	v_add_nc_u32_e32 v1, 1, v0
	s_mov_b32 s26, 0
	s_delay_alu instid0(VALU_DEP_2) | instskip(NEXT) | instid1(VALU_DEP_2)
	v_mov_b32_e32 v12, v11
	v_dual_mov_b32 v4, v1 :: v_dual_mov_b32 v3, v0
.LBB10_32:                              ; =>This Inner Loop Header: Depth=1
	s_delay_alu instid0(VALU_DEP_1) | instskip(NEXT) | instid1(VALU_DEP_1)
	v_dual_mov_b32 v1, v3 :: v_dual_add_nc_u32 v12, -2, v12
	v_lshlrev_b64 v[5:6], 5, v[1:2]
	s_delay_alu instid0(VALU_DEP_3) | instskip(NEXT) | instid1(VALU_DEP_3)
	v_dual_mov_b32 v1, v4 :: v_dual_add_nc_u32 v4, 2, v4
	v_cmp_eq_u32_e32 vcc_lo, 0, v12
	s_delay_alu instid0(VALU_DEP_2) | instskip(NEXT) | instid1(VALU_DEP_4)
	v_lshlrev_b64 v[7:8], 5, v[1:2]
	v_add_co_u32 v21, s0, s20, v5
	s_delay_alu instid0(VALU_DEP_1) | instskip(SKIP_1) | instid1(VALU_DEP_1)
	v_add_co_ci_u32_e64 v22, s0, s21, v6, s0
	v_add_co_u32 v25, s0, s16, v5
	v_add_co_ci_u32_e64 v26, s0, s17, v6, s0
	v_add_co_u32 v5, s0, s18, v5
	s_delay_alu instid0(VALU_DEP_1) | instskip(SKIP_1) | instid1(VALU_DEP_1)
	v_add_co_ci_u32_e64 v6, s0, s24, v6, s0
	v_add_co_u32 v37, s0, s20, v7
	v_add_co_ci_u32_e64 v38, s0, s21, v8, s0
	v_add_co_u32 v41, s0, s16, v7
	s_delay_alu instid0(VALU_DEP_1)
	v_add_co_ci_u32_e64 v42, s0, s17, v8, s0
	global_load_b128 v[13:16], v[21:22], off
	global_load_b128 v[17:20], v[25:26], off
	global_load_b128 v[21:24], v[21:22], off offset:16
	global_load_b128 v[25:28], v[25:26], off offset:16
	global_load_b128 v[29:32], v[37:38], off
	global_load_b128 v[33:36], v[41:42], off
	global_load_b128 v[37:40], v[37:38], off offset:16
	global_load_b128 v[41:44], v[41:42], off offset:16
	v_add_co_u32 v7, s0, s18, v7
	s_delay_alu instid0(VALU_DEP_1)
	v_add_co_ci_u32_e64 v8, s0, s24, v8, s0
	s_or_b32 s26, vcc_lo, s26
	s_waitcnt vmcnt(7)
	v_lshlrev_b32_e32 v46, 16, v14
	v_and_b32_e32 v14, 0xffff0000, v14
	s_waitcnt vmcnt(5)
	v_lshlrev_b32_e32 v58, 16, v24
	v_lshlrev_b32_e32 v51, 16, v20
	s_waitcnt vmcnt(1)
	v_lshlrev_b32_e32 v74, 16, v40
	v_lshlrev_b32_e32 v65, 16, v35
	s_waitcnt vmcnt(0)
	v_lshlrev_b32_e32 v73, 16, v43
	v_and_b32_e32 v40, 0xffff0000, v40
	v_and_b32_e32 v24, 0xffff0000, v24
	s_waitcnt lgkmcnt(0)
	v_dual_mul_f32 v74, v9, v74 :: v_dual_and_b32 v43, 0xffff0000, v43
	v_lshlrev_b32_e32 v70, 16, v38
	v_lshlrev_b32_e32 v59, 16, v28
	v_dual_mul_f32 v24, v9, v24 :: v_dual_lshlrev_b32 v53, 16, v25
	v_dual_mul_f32 v40, v9, v40 :: v_dual_lshlrev_b32 v63, 16, v34
	s_delay_alu instid0(VALU_DEP_4)
	v_mul_f32_e32 v70, v9, v70
	v_lshlrev_b32_e32 v62, 16, v30
	v_and_b32_e32 v25, 0xffff0000, v25
	v_lshlrev_b32_e32 v66, 16, v32
	v_lshlrev_b32_e32 v1, 16, v13
	;; [unrolled: 1-line block ×3, first 2 shown]
	v_mul_f32_e32 v62, v9, v62
	v_lshlrev_b32_e32 v56, 16, v23
	v_dual_mul_f32 v66, v9, v66 :: v_dual_and_b32 v23, 0xffff0000, v23
	v_lshlrev_b32_e32 v50, 16, v16
	v_lshlrev_b32_e32 v68, 16, v37
	;; [unrolled: 1-line block ×3, first 2 shown]
	s_delay_alu instid0(VALU_DEP_4) | instskip(NEXT) | instid1(VALU_DEP_4)
	v_mul_f32_e32 v23, v9, v23
	v_dual_mul_f32 v50, v9, v50 :: v_dual_and_b32 v13, 0xffff0000, v13
	v_and_b32_e32 v32, 0xffff0000, v32
	v_mul_f32_e32 v68, v9, v68
	s_delay_alu instid0(VALU_DEP_3) | instskip(SKIP_3) | instid1(VALU_DEP_4)
	v_dual_mul_f32 v13, v9, v13 :: v_dual_and_b32 v30, 0xffff0000, v30
	v_mul_f32_e32 v14, v9, v14
	v_mul_f32_e32 v1, v9, v1
	v_dual_mul_f32 v46, v9, v46 :: v_dual_add_nc_u32 v3, 2, v3
	v_dual_mul_f32 v30, v9, v30 :: v_dual_lshlrev_b32 v57, 16, v27
	v_dual_mul_f32 v32, v9, v32 :: v_dual_and_b32 v27, 0xffff0000, v27
	v_lshlrev_b32_e32 v60, 16, v29
	v_lshlrev_b32_e32 v69, 16, v41
	;; [unrolled: 1-line block ×3, first 2 shown]
	v_and_b32_e32 v38, 0xffff0000, v38
	v_and_b32_e32 v29, 0xffff0000, v29
	v_bfe_u32 v76, v1, 16, 1
	v_bfe_u32 v77, v13, 16, 1
	;; [unrolled: 1-line block ×3, first 2 shown]
	v_mul_f32_e32 v38, v9, v38
	v_dual_mul_f32 v29, v9, v29 :: v_dual_and_b32 v16, 0xffff0000, v16
	s_delay_alu instid0(VALU_DEP_4)
	v_add3_u32 v77, v13, v77, 0x7fff
	v_add3_u32 v76, v1, v76, 0x7fff
	v_add3_u32 v78, v46, v78, 0x7fff
	v_cmp_o_f32_e64 s1, v46, v46
	v_bfe_u32 v46, v30, 16, 1
	v_bfe_u32 v91, v24, 16, 1
	;; [unrolled: 1-line block ×3, first 2 shown]
	v_and_b32_e32 v77, 0xffff0000, v77
	v_cmp_o_f32_e64 s0, v13, v13
	v_bfe_u32 v13, v62, 16, 1
	v_and_b32_e32 v78, 0xffff0000, v78
	v_and_b32_e32 v76, 0xffff0000, v76
	v_add3_u32 v46, v30, v46, 0x7fff
	v_cmp_o_f32_e64 s15, v1, v1
	v_add3_u32 v91, v24, v91, 0x7fff
	v_add3_u32 v93, v29, v93, 0x7fff
	;; [unrolled: 1-line block ×3, first 2 shown]
	v_cmp_o_f32_e64 s14, v24, v24
	v_cndmask_b32_e64 v24, 0x7fc00000, v76, s15
	v_cmp_o_f32_e64 s15, v29, v29
	v_cndmask_b32_e64 v29, 0x7fc00000, v77, s0
	;; [unrolled: 2-line block ×3, first 2 shown]
	v_and_b32_e32 v46, 0xffff0000, v46
	v_cmp_o_f32_e64 s1, v30, v30
	v_lshlrev_b32_e32 v72, 16, v39
	v_mul_f32_e32 v60, v9, v60
	v_and_b32_e32 v76, 0xffff0000, v93
	v_and_b32_e32 v33, 0xffff0000, v33
	v_cndmask_b32_e64 v46, 0x7fc00000, v46, s1
	v_dual_mul_f32 v72, v9, v72 :: v_dual_and_b32 v39, 0xffff0000, v39
	v_lshlrev_b32_e32 v52, 16, v21
	v_and_b32_e32 v21, 0xffff0000, v21
	v_lshlrev_b32_e32 v48, 16, v15
	v_and_b32_e32 v41, 0xffff0000, v41
	v_lshlrev_b32_e32 v64, 16, v31
	v_lshlrev_b32_e32 v55, 16, v26
	v_mul_f32_e32 v21, v9, v21
	v_dual_mul_f32 v48, v9, v48 :: v_dual_lshlrev_b32 v45, 16, v17
	v_dual_mul_f32 v16, v9, v16 :: v_dual_and_b32 v17, 0xffff0000, v17
	s_delay_alu instid0(VALU_DEP_2) | instskip(SKIP_1) | instid1(VALU_DEP_3)
	v_dual_mul_f32 v24, v24, v45 :: v_dual_and_b32 v31, 0xffff0000, v31
	v_cndmask_b32_e64 v45, 0x7fc00000, v76, s15
	v_dual_mul_f32 v17, v29, v17 :: v_dual_and_b32 v34, 0xffff0000, v34
	v_bfe_u32 v79, v14, 16, 1
	v_bfe_u32 v80, v48, 16, 1
	s_delay_alu instid0(VALU_DEP_3)
	v_dual_mul_f32 v33, v45, v33 :: v_dual_mul_f32 v34, v46, v34
	v_mul_f32_e32 v39, v9, v39
	v_dual_mul_f32 v52, v9, v52 :: v_dual_lshlrev_b32 v47, 16, v18
	v_and_b32_e32 v26, 0xffff0000, v26
	v_and_b32_e32 v37, 0xffff0000, v37
	v_lshlrev_b32_e32 v54, 16, v22
	v_and_b32_e32 v22, 0xffff0000, v22
	v_and_b32_e32 v15, 0xffff0000, v15
	v_bfe_u32 v82, v50, 16, 1
	v_bfe_u32 v83, v16, 16, 1
	;; [unrolled: 1-line block ×3, first 2 shown]
	v_mul_f32_e32 v22, v9, v22
	v_dual_mul_f32 v15, v9, v15 :: v_dual_and_b32 v18, 0xffff0000, v18
	v_bfe_u32 v85, v21, 16, 1
	v_dual_mul_f32 v31, v9, v31 :: v_dual_and_b32 v20, 0xffff0000, v20
	v_mul_f32_e32 v64, v9, v64
	s_delay_alu instid0(VALU_DEP_4)
	v_bfe_u32 v81, v15, 16, 1
	v_mul_f32_e32 v37, v9, v37
	v_add3_u32 v79, v14, v79, 0x7fff
	v_add3_u32 v80, v48, v80, 0x7fff
	;; [unrolled: 1-line block ×7, first 2 shown]
	v_and_b32_e32 v42, 0xffff0000, v42
	v_and_b32_e32 v44, 0xffff0000, v44
	;; [unrolled: 1-line block ×3, first 2 shown]
	v_cmp_o_f32_e64 s2, v14, v14
	v_bfe_u32 v14, v64, 16, 1
	v_and_b32_e32 v80, 0xffff0000, v80
	v_cmp_o_f32_e64 s3, v48, v48
	v_bfe_u32 v48, v31, 16, 1
	v_and_b32_e32 v81, 0xffff0000, v81
	;; [unrolled: 3-line block ×6, first 2 shown]
	v_cmp_o_f32_e64 s8, v21, v21
	v_add3_u32 v14, v64, v14, 0x7fff
	v_add3_u32 v48, v31, v48, 0x7fff
	;; [unrolled: 1-line block ×6, first 2 shown]
	v_cndmask_b32_e64 v30, 0x7fc00000, v79, s2
	v_cmp_o_f32_e64 s2, v64, v64
	v_cndmask_b32_e64 v64, 0x7fc00000, v80, s3
	v_cmp_o_f32_e64 s3, v31, v31
	;; [unrolled: 2-line block ×6, first 2 shown]
	v_cndmask_b32_e64 v37, 0x7fc00000, v85, s8
	v_dual_mul_f32 v54, v9, v54 :: v_dual_lshlrev_b32 v49, 16, v19
	v_bfe_u32 v87, v22, 16, 1
	v_bfe_u32 v89, v23, 16, 1
	s_delay_alu instid0(VALU_DEP_4) | instskip(SKIP_4) | instid1(VALU_DEP_4)
	v_mul_f32_e32 v25, v37, v25
	v_dual_mul_f32 v56, v9, v56 :: v_dual_and_b32 v19, 0xffff0000, v19
	v_bfe_u32 v86, v54, 16, 1
	v_bfe_u32 v92, v60, 16, 1
	v_add3_u32 v87, v22, v87, 0x7fff
	v_dual_mul_f32 v19, v31, v19 :: v_dual_mul_f32 v58, v9, v58
	v_bfe_u32 v88, v56, 16, 1
	v_add3_u32 v86, v54, v86, 0x7fff
	v_cmp_o_f32_e64 s9, v54, v54
	v_bfe_u32 v54, v38, 16, 1
	v_bfe_u32 v90, v58, 16, 1
	v_add3_u32 v88, v56, v88, 0x7fff
	v_add3_u32 v89, v23, v89, 0x7fff
	v_cmp_o_f32_e64 s13, v58, v58
	v_bfe_u32 v21, v70, 16, 1
	v_add3_u32 v90, v58, v90, 0x7fff
	v_bfe_u32 v58, v40, 16, 1
	v_cmp_o_f32_e64 s10, v22, v22
	v_bfe_u32 v22, v72, 16, 1
	v_cmp_o_f32_e64 s11, v56, v56
	;; [unrolled: 2-line block ×3, first 2 shown]
	v_bfe_u32 v23, v74, 16, 1
	v_and_b32_e32 v86, 0xffff0000, v86
	v_and_b32_e32 v87, 0xffff0000, v87
	v_and_b32_e32 v88, 0xffff0000, v88
	v_and_b32_e32 v89, 0xffff0000, v89
	v_and_b32_e32 v90, 0xffff0000, v90
	v_add3_u32 v92, v60, v92, 0x7fff
	v_add3_u32 v54, v38, v54, 0x7fff
	;; [unrolled: 1-line block ×3, first 2 shown]
	v_and_b32_e32 v91, 0xffff0000, v91
	v_add3_u32 v21, v70, v21, 0x7fff
	v_add3_u32 v22, v72, v22, 0x7fff
	;; [unrolled: 1-line block ×4, first 2 shown]
	v_and_b32_e32 v1, 0xffff0000, v92
	v_and_b32_e32 v13, 0xffff0000, v13
	;; [unrolled: 1-line block ×7, first 2 shown]
	v_cmp_o_f32_e64 s8, v70, v70
	v_cndmask_b32_e64 v70, 0x7fc00000, v86, s9
	v_and_b32_e32 v28, 0xffff0000, v28
	v_and_b32_e32 v54, 0xffff0000, v54
	v_cmp_o_f32_e64 s9, v38, v38
	v_cndmask_b32_e64 v38, 0x7fc00000, v87, s10
	v_mul_f32_e32 v37, v70, v55
	v_cmp_o_f32_e64 s10, v72, v72
	v_cndmask_b32_e64 v72, 0x7fc00000, v88, s11
	v_cmp_o_f32_e64 s11, v39, v39
	v_cndmask_b32_e64 v39, 0x7fc00000, v89, s12
	;; [unrolled: 2-line block ×3, first 2 shown]
	v_and_b32_e32 v58, 0xffff0000, v58
	v_cmp_o_f32_e64 s13, v40, v40
	v_cndmask_b32_e64 v40, 0x7fc00000, v91, s14
	v_cmp_o_f32_e64 s14, v60, v60
	v_and_b32_e32 v16, 0xffff0000, v16
	v_and_b32_e32 v21, 0xffff0000, v21
	v_and_b32_e32 v22, 0xffff0000, v22
	v_and_b32_e32 v56, 0xffff0000, v56
	v_and_b32_e32 v23, 0xffff0000, v23
	v_dual_mul_f32 v18, v30, v18 :: v_dual_and_b32 v35, 0xffff0000, v35
	v_dual_mul_f32 v30, v64, v49 :: v_dual_lshlrev_b32 v67, 16, v36
	v_cndmask_b32_e64 v1, 0x7fc00000, v1, s14
	v_cndmask_b32_e64 v13, 0x7fc00000, v13, s0
	v_mul_f32_e32 v29, v62, v47
	v_cndmask_b32_e64 v14, 0x7fc00000, v14, s2
	v_cndmask_b32_e64 v47, 0x7fc00000, v48, s3
	;; [unrolled: 1-line block ×3, first 2 shown]
	v_dual_mul_f32 v31, v66, v51 :: v_dual_and_b32 v36, 0xffff0000, v36
	v_cndmask_b32_e64 v48, 0x7fc00000, v50, s5
	s_delay_alu instid0(VALU_DEP_3)
	v_dual_mul_f32 v20, v32, v20 :: v_dual_mul_f32 v15, v15, v67
	v_mul_f32_e32 v32, v68, v53
	v_cndmask_b32_e64 v49, 0x7fc00000, v52, s7
	v_cndmask_b32_e64 v50, 0x7fc00000, v54, s9
	v_mul_f32_e32 v26, v38, v26
	v_mul_f32_e32 v38, v72, v57
	v_cndmask_b32_e64 v52, 0x7fc00000, v58, s13
	v_mul_f32_e32 v28, v40, v28
	v_cndmask_b32_e64 v16, 0x7fc00000, v16, s6
	v_cndmask_b32_e64 v21, 0x7fc00000, v21, s8
	;; [unrolled: 1-line block ×4, first 2 shown]
	v_mul_f32_e32 v27, v39, v27
	v_cndmask_b32_e64 v23, 0x7fc00000, v23, s12
	v_mul_f32_e32 v39, v74, v59
	v_mul_f32_e32 v1, v1, v61
	v_bfe_u32 v40, v24, 16, 1
	v_bfe_u32 v45, v17, 16, 1
	v_mul_f32_e32 v13, v13, v63
	v_bfe_u32 v53, v29, 16, 1
	v_bfe_u32 v46, v18, 16, 1
	v_mul_f32_e32 v14, v14, v65
	v_bfe_u32 v54, v30, 16, 1
	v_mul_f32_e32 v35, v47, v35
	v_bfe_u32 v47, v19, 16, 1
	v_bfe_u32 v55, v31, 16, 1
	v_mul_f32_e32 v36, v48, v36
	;; [unrolled: 5-line block ×3, first 2 shown]
	v_bfe_u32 v52, v28, 16, 1
	v_bfe_u32 v48, v20, 16, 1
	v_mul_f32_e32 v16, v16, v69
	v_mul_f32_e32 v41, v49, v41
	v_bfe_u32 v49, v25, 16, 1
	v_mul_f32_e32 v21, v21, v71
	v_bfe_u32 v57, v37, 16, 1
	v_dual_mul_f32 v22, v22, v73 :: v_dual_mul_f32 v43, v51, v43
	v_bfe_u32 v51, v27, 16, 1
	v_mul_f32_e32 v23, v23, v75
	v_bfe_u32 v59, v39, 16, 1
	v_bfe_u32 v60, v1, 16, 1
	v_add3_u32 v40, v24, v40, 0x7fff
	v_bfe_u32 v61, v33, 16, 1
	v_add3_u32 v45, v17, v45, 0x7fff
	v_bfe_u32 v62, v13, 16, 1
	v_add3_u32 v53, v29, v53, 0x7fff
	v_bfe_u32 v63, v34, 16, 1
	v_add3_u32 v46, v18, v46, 0x7fff
	v_bfe_u32 v64, v14, 16, 1
	v_add3_u32 v54, v30, v54, 0x7fff
	v_bfe_u32 v65, v35, 16, 1
	v_add3_u32 v47, v19, v47, 0x7fff
	v_bfe_u32 v66, v15, 16, 1
	v_add3_u32 v55, v31, v55, 0x7fff
	v_bfe_u32 v67, v36, 16, 1
	v_add3_u32 v56, v32, v56, 0x7fff
	v_add3_u32 v50, v26, v50, 0x7fff
	v_add3_u32 v58, v38, v58, 0x7fff
	;; [unrolled: 1-line block ×4, first 2 shown]
	v_bfe_u32 v68, v16, 16, 1
	v_bfe_u32 v69, v41, 16, 1
	v_add3_u32 v49, v25, v49, 0x7fff
	v_bfe_u32 v70, v21, 16, 1
	v_add3_u32 v57, v37, v57, 0x7fff
	v_bfe_u32 v71, v42, 16, 1
	v_bfe_u32 v72, v22, 16, 1
	;; [unrolled: 1-line block ×3, first 2 shown]
	v_add3_u32 v51, v27, v51, 0x7fff
	v_bfe_u32 v74, v23, 16, 1
	v_add3_u32 v59, v39, v59, 0x7fff
	v_bfe_u32 v75, v44, 16, 1
	v_add3_u32 v60, v1, v60, 0x7fff
	v_lshrrev_b32_e32 v40, 16, v40
	v_add3_u32 v61, v33, v61, 0x7fff
	v_lshrrev_b32_e32 v45, 16, v45
	v_cmp_o_f32_e64 s0, v17, v17
	v_add3_u32 v17, v13, v62, 0x7fff
	v_lshrrev_b32_e32 v53, 16, v53
	v_cmp_o_f32_e64 s1, v29, v29
	;; [unrolled: 3-line block ×7, first 2 shown]
	v_lshrrev_b32_e32 v50, 16, v50
	v_cmp_o_f32_e64 s10, v26, v26
	v_lshrrev_b32_e32 v58, 16, v58
	v_cmp_o_f32_e64 s11, v38, v38
	;; [unrolled: 2-line block ×3, first 2 shown]
	v_cmp_o_f32_e64 s15, v24, v24
	v_lshrrev_b32_e32 v48, 16, v48
	v_cmp_o_f32_e64 s6, v20, v20
	v_add3_u32 v20, v16, v68, 0x7fff
	v_add3_u32 v32, v41, v69, 0x7fff
	v_lshrrev_b32_e32 v49, 16, v49
	v_cmp_o_f32_e64 s8, v25, v25
	v_add3_u32 v25, v21, v70, 0x7fff
	v_lshrrev_b32_e32 v57, 16, v57
	v_cmp_o_f32_e64 s9, v37, v37
	v_add3_u32 v37, v42, v71, 0x7fff
	v_add3_u32 v26, v22, v72, 0x7fff
	;; [unrolled: 1-line block ×3, first 2 shown]
	v_lshrrev_b32_e32 v51, 16, v51
	v_cmp_o_f32_e64 s12, v27, v27
	v_add3_u32 v27, v23, v74, 0x7fff
	v_lshrrev_b32_e32 v59, 16, v59
	v_cmp_o_f32_e64 s13, v39, v39
	v_add3_u32 v39, v44, v75, 0x7fff
	v_lshrrev_b32_e32 v24, 16, v60
	v_cndmask_b32_e64 v28, 0x7fc0, v40, s15
	v_lshrrev_b32_e32 v40, 16, v61
	v_cmp_o_f32_e64 s15, v33, v33
	v_cndmask_b32_e64 v33, 0x7fc0, v45, s0
	v_lshrrev_b32_e32 v17, 16, v17
	v_cmp_o_f32_e64 s0, v13, v13
	;; [unrolled: 3-line block ×7, first 2 shown]
	v_cndmask_b32_e64 v36, 0x7fc0, v56, s7
	v_cmp_o_f32_e64 s7, v41, v41
	v_cndmask_b32_e64 v41, 0x7fc0, v50, s10
	v_cmp_o_f32_e64 s10, v22, v22
	;; [unrolled: 2-line block ×4, first 2 shown]
	v_cndmask_b32_e64 v31, 0x7fc0, v48, s6
	v_lshrrev_b32_e32 v20, 16, v20
	v_cmp_o_f32_e64 s6, v16, v16
	v_lshrrev_b32_e32 v16, 16, v32
	v_cndmask_b32_e64 v32, 0x7fc0, v49, s8
	v_lshrrev_b32_e32 v25, 16, v25
	v_cmp_o_f32_e64 s8, v21, v21
	v_cndmask_b32_e64 v21, 0x7fc0, v57, s9
	v_lshrrev_b32_e32 v37, 16, v37
	v_cmp_o_f32_e64 s9, v42, v42
	v_lshrrev_b32_e32 v26, 16, v26
	v_lshrrev_b32_e32 v38, 16, v38
	v_cndmask_b32_e64 v42, 0x7fc0, v51, s12
	v_lshrrev_b32_e32 v27, 16, v27
	v_cmp_o_f32_e64 s12, v23, v23
	v_cndmask_b32_e64 v23, 0x7fc0, v59, s13
	v_lshrrev_b32_e32 v39, 16, v39
	v_cmp_o_f32_e64 s13, v44, v44
	v_cndmask_b32_e64 v1, 0x7fc0, v24, s14
	v_cndmask_b32_e64 v24, 0x7fc0, v40, s15
	;; [unrolled: 1-line block ×16, first 2 shown]
	v_perm_b32 v13, v33, v28, 0x5040100
	v_perm_b32 v14, v29, v45, 0x5040100
	;; [unrolled: 1-line block ×16, first 2 shown]
	s_clause 0x3
	global_store_b128 v[5:6], v[13:16], off
	global_store_b128 v[5:6], v[17:20], off offset:16
	global_store_b128 v[7:8], v[21:24], off
	global_store_b128 v[7:8], v[25:28], off offset:16
	s_and_not1_b32 exec_lo, exec_lo, s26
	s_cbranch_execnz .LBB10_32
; %bb.33:
	s_or_b32 exec_lo, exec_lo, s26
	v_cmp_ne_u32_e32 vcc_lo, v10, v11
	v_add_nc_u32_e32 v0, v0, v11
	s_and_not1_b32 s0, s19, exec_lo
	s_and_b32 s1, vcc_lo, exec_lo
	s_delay_alu instid0(SALU_CYCLE_1) | instskip(SKIP_1) | instid1(SALU_CYCLE_1)
	s_or_b32 s19, s0, s1
	s_or_b32 exec_lo, exec_lo, s25
	s_and_b32 exec_lo, exec_lo, s19
	s_cbranch_execz .LBB10_36
.LBB10_34:
	v_mov_b32_e32 v1, 0
	s_waitcnt lgkmcnt(0)
	v_mov_b32_e32 v3, v9
	s_mov_b32 s19, 0
	s_lshl_b32 s25, s22, 5
	v_lshlrev_b64 v[1:2], 5, v[0:1]
.LBB10_35:                              ; =>This Inner Loop Header: Depth=1
	s_delay_alu instid0(VALU_DEP_1) | instskip(NEXT) | instid1(VALU_DEP_2)
	v_add_co_u32 v14, vcc_lo, s20, v1
	v_add_co_ci_u32_e32 v15, vcc_lo, s21, v2, vcc_lo
	v_add_co_u32 v18, vcc_lo, s16, v1
	v_add_co_ci_u32_e32 v19, vcc_lo, s17, v2, vcc_lo
	v_add_co_u32 v22, vcc_lo, s18, v1
	global_load_b128 v[4:7], v[14:15], off
	global_load_b128 v[10:13], v[18:19], off
	global_load_b128 v[14:17], v[14:15], off offset:16
	global_load_b128 v[18:21], v[18:19], off offset:16
	v_add_co_ci_u32_e32 v23, vcc_lo, s24, v2, vcc_lo
	s_add_u32 s18, s18, s25
	s_addc_u32 s24, s24, 0
	s_add_u32 s20, s20, s25
	s_addc_u32 s21, s21, 0
	s_add_u32 s16, s16, s25
	s_addc_u32 s17, s17, 0
	s_waitcnt vmcnt(3)
	v_lshlrev_b32_e32 v25, 16, v5
	v_lshlrev_b32_e32 v8, 16, v4
	s_waitcnt vmcnt(1)
	v_lshlrev_b32_e32 v35, 16, v16
	v_and_b32_e32 v16, 0xffff0000, v16
	v_lshlrev_b32_e32 v27, 16, v6
	s_waitcnt vmcnt(0)
	v_and_b32_e32 v36, 0xffff0000, v20
	v_lshlrev_b32_e32 v20, 16, v20
	v_and_b32_e32 v38, 0xffff0000, v21
	v_mul_f32_e32 v16, v3, v16
	v_dual_mul_f32 v27, v9, v27 :: v_dual_and_b32 v4, 0xffff0000, v4
	v_lshlrev_b32_e32 v37, 16, v17
	v_and_b32_e32 v17, 0xffff0000, v17
	s_delay_alu instid0(VALU_DEP_3) | instskip(SKIP_4) | instid1(VALU_DEP_4)
	v_dual_mul_f32 v4, v3, v4 :: v_dual_lshlrev_b32 v21, 16, v21
	v_mul_f32_e32 v25, v9, v25
	v_dual_mul_f32 v8, v9, v8 :: v_dual_and_b32 v5, 0xffff0000, v5
	v_lshlrev_b32_e32 v33, 16, v15
	v_and_b32_e32 v26, 0xffff0000, v11
	v_bfe_u32 v41, v25, 16, 1
	v_cmp_o_f32_e64 s2, v25, v25
	v_bfe_u32 v39, v8, 16, 1
	v_cmp_o_f32_e64 s0, v8, v8
	v_dual_mul_f32 v5, v3, v5 :: v_dual_add_nc_u32 v0, s22, v0
	v_add3_u32 v41, v25, v41, 0x7fff
	s_delay_alu instid0(VALU_DEP_4)
	v_add3_u32 v39, v8, v39, 0x7fff
	v_bfe_u32 v43, v27, 16, 1
	v_cmp_o_f32_e64 s4, v27, v27
	v_bfe_u32 v42, v5, 16, 1
	v_and_b32_e32 v8, 0xffff0000, v41
	v_mul_f32_e32 v17, v3, v17
	v_and_b32_e32 v39, 0xffff0000, v39
	v_add3_u32 v43, v27, v43, 0x7fff
	v_add3_u32 v42, v5, v42, 0x7fff
	v_cndmask_b32_e64 v8, 0x7fc00000, v8, s2
	v_lshlrev_b32_e32 v31, 16, v14
	v_and_b32_e32 v14, 0xffff0000, v14
	v_lshlrev_b32_e32 v29, 16, v7
	v_bfe_u32 v54, v17, 16, 1
	s_delay_alu instid0(VALU_DEP_4) | instskip(NEXT) | instid1(VALU_DEP_3)
	v_dual_mul_f32 v31, v9, v31 :: v_dual_and_b32 v6, 0xffff0000, v6
	v_dual_mul_f32 v14, v3, v14 :: v_dual_mul_f32 v29, v9, v29
	s_delay_alu instid0(VALU_DEP_3)
	v_add3_u32 v54, v17, v54, 0x7fff
	v_cmp_o_f32_e64 s13, v17, v17
	v_cndmask_b32_e64 v17, 0x7fc00000, v39, s0
	v_and_b32_e32 v7, 0xffff0000, v7
	v_and_b32_e32 v24, 0xffff0000, v10
	v_lshlrev_b32_e32 v10, 16, v10
	v_dual_mul_f32 v6, v3, v6 :: v_dual_lshlrev_b32 v11, 16, v11
	v_bfe_u32 v45, v29, 16, 1
	v_cmp_o_f32_e64 s6, v29, v29
	v_cmp_o_f32_e64 s1, v5, v5
	v_and_b32_e32 v5, 0xffff0000, v43
	v_bfe_u32 v44, v6, 16, 1
	v_add3_u32 v45, v29, v45, 0x7fff
	v_cmp_o_f32_e64 s3, v6, v6
	v_mul_f32_e32 v10, v17, v10
	v_mul_f32_e32 v35, v9, v35
	v_add3_u32 v44, v6, v44, 0x7fff
	v_dual_mul_f32 v7, v3, v7 :: v_dual_and_b32 v6, 0xffff0000, v45
	v_cndmask_b32_e64 v5, 0x7fc00000, v5, s4
	s_delay_alu instid0(VALU_DEP_4) | instskip(NEXT) | instid1(VALU_DEP_4)
	v_bfe_u32 v51, v35, 16, 1
	v_and_b32_e32 v25, 0xffff0000, v44
	s_delay_alu instid0(VALU_DEP_4)
	v_cndmask_b32_e64 v6, 0x7fc00000, v6, s6
	v_and_b32_e32 v15, 0xffff0000, v15
	v_and_b32_e32 v28, 0xffff0000, v12
	v_lshlrev_b32_e32 v12, 16, v12
	v_add3_u32 v51, v35, v51, 0x7fff
	v_cmp_o_f32_e64 s12, v35, v35
	v_mul_f32_e32 v15, v3, v15
	v_and_b32_e32 v35, 0xffff0000, v54
	v_cndmask_b32_e64 v25, 0x7fc00000, v25, s3
	v_bfe_u32 v40, v4, 16, 1
	v_bfe_u32 v46, v7, 16, 1
	;; [unrolled: 1-line block ×3, first 2 shown]
	v_cmp_o_f32_e64 s9, v15, v15
	v_cndmask_b32_e64 v35, 0x7fc00000, v35, s13
	v_bfe_u32 v47, v31, 16, 1
	v_bfe_u32 v48, v14, 16, 1
	v_add3_u32 v50, v15, v50, 0x7fff
	v_and_b32_e32 v15, 0xffff0000, v51
	v_mul_f32_e32 v5, v5, v12
	v_mul_f32_e32 v12, v25, v28
	;; [unrolled: 1-line block ×3, first 2 shown]
	v_bfe_u32 v52, v16, 16, 1
	v_cndmask_b32_e64 v15, 0x7fc00000, v15, s12
	v_add3_u32 v40, v4, v40, 0x7fff
	v_add3_u32 v46, v7, v46, 0x7fff
	v_bfe_u32 v49, v33, 16, 1
	v_add3_u32 v48, v14, v48, 0x7fff
	v_mul_f32_e32 v15, v15, v20
	v_mul_f32_e32 v20, v35, v38
	v_dual_mul_f32 v37, v9, v37 :: v_dual_and_b32 v32, 0xffff0000, v18
	v_lshlrev_b32_e32 v18, 16, v18
	v_add3_u32 v47, v31, v47, 0x7fff
	v_add3_u32 v49, v33, v49, 0x7fff
	;; [unrolled: 1-line block ×3, first 2 shown]
	v_bfe_u32 v53, v37, 16, 1
	v_and_b32_e32 v40, 0xffff0000, v40
	v_and_b32_e32 v41, 0xffff0000, v42
	;; [unrolled: 1-line block ×3, first 2 shown]
	v_cmp_o_f32_e64 s5, v7, v7
	v_add3_u32 v53, v37, v53, 0x7fff
	v_cmp_o_f32_e64 s15, v4, v4
	v_and_b32_e32 v7, 0xffff0000, v47
	v_and_b32_e32 v29, 0xffff0000, v48
	v_cmp_o_f32_e64 s7, v14, v14
	v_cmp_o_f32_e64 s8, v31, v31
	v_and_b32_e32 v14, 0xffff0000, v49
	v_and_b32_e32 v31, 0xffff0000, v50
	v_cmp_o_f32_e64 s10, v33, v33
	v_and_b32_e32 v33, 0xffff0000, v52
	v_cmp_o_f32_e64 s11, v16, v16
	;; [unrolled: 2-line block ×3, first 2 shown]
	v_cndmask_b32_e64 v4, 0x7fc00000, v40, s15
	v_cndmask_b32_e64 v37, 0x7fc00000, v41, s1
	v_and_b32_e32 v30, 0xffff0000, v13
	v_lshlrev_b32_e32 v13, 16, v13
	v_cndmask_b32_e64 v27, 0x7fc00000, v27, s5
	v_mul_f32_e32 v4, v4, v24
	v_cndmask_b32_e64 v29, 0x7fc00000, v29, s7
	v_cndmask_b32_e64 v7, 0x7fc00000, v7, s8
	;; [unrolled: 1-line block ×6, first 2 shown]
	v_dual_mul_f32 v8, v8, v11 :: v_dual_mul_f32 v11, v37, v26
	v_and_b32_e32 v34, 0xffff0000, v19
	v_dual_mul_f32 v6, v6, v13 :: v_dual_mul_f32 v13, v27, v30
	v_lshlrev_b32_e32 v19, 16, v19
	v_mul_f32_e32 v7, v7, v18
	s_delay_alu instid0(VALU_DEP_4) | instskip(SKIP_1) | instid1(VALU_DEP_4)
	v_dual_mul_f32 v18, v31, v34 :: v_dual_mul_f32 v17, v29, v32
	v_mul_f32_e32 v16, v16, v21
	v_dual_mul_f32 v14, v14, v19 :: v_dual_mul_f32 v19, v33, v36
	v_bfe_u32 v21, v4, 16, 1
	v_bfe_u32 v24, v10, 16, 1
	;; [unrolled: 1-line block ×16, first 2 shown]
	v_add3_u32 v24, v10, v24, 0x7fff
	v_add3_u32 v21, v4, v21, 0x7fff
	;; [unrolled: 1-line block ×16, first 2 shown]
	v_lshrrev_b32_e32 v21, 16, v21
	v_lshrrev_b32_e32 v24, 16, v24
	v_cmp_o_f32_e64 s0, v10, v10
	v_lshrrev_b32_e32 v10, 16, v25
	v_lshrrev_b32_e32 v25, 16, v26
	v_cmp_o_f32_e64 s1, v11, v11
	v_cmp_o_f32_e64 s2, v8, v8
	v_lshrrev_b32_e32 v8, 16, v27
	v_lshrrev_b32_e32 v11, 16, v28
	v_cmp_o_f32_e64 s3, v12, v12
	;; [unrolled: 4-line block ×3, first 2 shown]
	v_cmp_o_f32_e64 s6, v6, v6
	v_cmp_o_f32_e64 s15, v4, v4
	v_lshrrev_b32_e32 v6, 16, v31
	v_lshrrev_b32_e32 v13, 16, v32
	v_cmp_o_f32_e64 s7, v17, v17
	v_cmp_o_f32_e64 s8, v7, v7
	v_lshrrev_b32_e32 v7, 16, v33
	v_lshrrev_b32_e32 v17, 16, v34
	;; [unrolled: 4-line block ×4, first 2 shown]
	v_cmp_o_f32_e64 s13, v20, v20
	v_cmp_o_f32_e64 s14, v16, v16
	v_cndmask_b32_e64 v4, 0x7fc0, v21, s15
	v_cndmask_b32_e64 v16, 0x7fc0, v24, s0
	;; [unrolled: 1-line block ×16, first 2 shown]
	v_cmp_le_i32_e32 vcc_lo, s23, v0
	v_perm_b32 v7, v5, v12, 0x5040100
	v_perm_b32 v6, v8, v11, 0x5040100
	;; [unrolled: 1-line block ×8, first 2 shown]
	s_or_b32 s19, vcc_lo, s19
	s_clause 0x1
	global_store_b128 v[22:23], v[4:7], off
	global_store_b128 v[22:23], v[10:13], off offset:16
	s_and_not1_b32 exec_lo, exec_lo, s19
	s_cbranch_execnz .LBB10_35
.LBB10_36:
	s_nop 0
	s_sendmsg sendmsg(MSG_DEALLOC_VGPRS)
	s_endpgm
	.section	.rodata,"a",@progbits
	.p2align	6, 0x0
	.amdhsa_kernel _ZN4vllm15rms_norm_kernelIN3c108BFloat16ELi16ELi2EEEvPT_PKS3_lllllS6_fii
		.amdhsa_group_segment_fixed_size 132
		.amdhsa_private_segment_fixed_size 0
		.amdhsa_kernarg_size 336
		.amdhsa_user_sgpr_count 15
		.amdhsa_user_sgpr_dispatch_ptr 0
		.amdhsa_user_sgpr_queue_ptr 0
		.amdhsa_user_sgpr_kernarg_segment_ptr 1
		.amdhsa_user_sgpr_dispatch_id 0
		.amdhsa_user_sgpr_private_segment_size 0
		.amdhsa_wavefront_size32 1
		.amdhsa_uses_dynamic_stack 0
		.amdhsa_enable_private_segment 0
		.amdhsa_system_sgpr_workgroup_id_x 1
		.amdhsa_system_sgpr_workgroup_id_y 0
		.amdhsa_system_sgpr_workgroup_id_z 0
		.amdhsa_system_sgpr_workgroup_info 0
		.amdhsa_system_vgpr_workitem_id 0
		.amdhsa_next_free_vgpr 94
		.amdhsa_next_free_sgpr 27
		.amdhsa_reserve_vcc 1
		.amdhsa_float_round_mode_32 0
		.amdhsa_float_round_mode_16_64 0
		.amdhsa_float_denorm_mode_32 3
		.amdhsa_float_denorm_mode_16_64 3
		.amdhsa_dx10_clamp 1
		.amdhsa_ieee_mode 1
		.amdhsa_fp16_overflow 0
		.amdhsa_workgroup_processor_mode 1
		.amdhsa_memory_ordered 1
		.amdhsa_forward_progress 0
		.amdhsa_shared_vgpr_count 0
		.amdhsa_exception_fp_ieee_invalid_op 0
		.amdhsa_exception_fp_denorm_src 0
		.amdhsa_exception_fp_ieee_div_zero 0
		.amdhsa_exception_fp_ieee_overflow 0
		.amdhsa_exception_fp_ieee_underflow 0
		.amdhsa_exception_fp_ieee_inexact 0
		.amdhsa_exception_int_div_zero 0
	.end_amdhsa_kernel
	.section	.text._ZN4vllm15rms_norm_kernelIN3c108BFloat16ELi16ELi2EEEvPT_PKS3_lllllS6_fii,"axG",@progbits,_ZN4vllm15rms_norm_kernelIN3c108BFloat16ELi16ELi2EEEvPT_PKS3_lllllS6_fii,comdat
.Lfunc_end10:
	.size	_ZN4vllm15rms_norm_kernelIN3c108BFloat16ELi16ELi2EEEvPT_PKS3_lllllS6_fii, .Lfunc_end10-_ZN4vllm15rms_norm_kernelIN3c108BFloat16ELi16ELi2EEEvPT_PKS3_lllllS6_fii
                                        ; -- End function
	.section	.AMDGPU.csdata,"",@progbits
; Kernel info:
; codeLenInByte = 8552
; NumSgprs: 29
; NumVgprs: 94
; ScratchSize: 0
; MemoryBound: 0
; FloatMode: 240
; IeeeMode: 1
; LDSByteSize: 132 bytes/workgroup (compile time only)
; SGPRBlocks: 3
; VGPRBlocks: 11
; NumSGPRsForWavesPerEU: 29
; NumVGPRsForWavesPerEU: 94
; Occupancy: 16
; WaveLimiterHint : 0
; COMPUTE_PGM_RSRC2:SCRATCH_EN: 0
; COMPUTE_PGM_RSRC2:USER_SGPR: 15
; COMPUTE_PGM_RSRC2:TRAP_HANDLER: 0
; COMPUTE_PGM_RSRC2:TGID_X_EN: 1
; COMPUTE_PGM_RSRC2:TGID_Y_EN: 0
; COMPUTE_PGM_RSRC2:TGID_Z_EN: 0
; COMPUTE_PGM_RSRC2:TIDIG_COMP_CNT: 0
	.section	.text._ZN4vllm15rms_norm_kernelIN3c108BFloat16ELi8ELi2EEEvPT_PKS3_lllllS6_fii,"axG",@progbits,_ZN4vllm15rms_norm_kernelIN3c108BFloat16ELi8ELi2EEEvPT_PKS3_lllllS6_fii,comdat
	.protected	_ZN4vllm15rms_norm_kernelIN3c108BFloat16ELi8ELi2EEEvPT_PKS3_lllllS6_fii ; -- Begin function _ZN4vllm15rms_norm_kernelIN3c108BFloat16ELi8ELi2EEEvPT_PKS3_lllllS6_fii
	.globl	_ZN4vllm15rms_norm_kernelIN3c108BFloat16ELi8ELi2EEEvPT_PKS3_lllllS6_fii
	.p2align	8
	.type	_ZN4vllm15rms_norm_kernelIN3c108BFloat16ELi8ELi2EEEvPT_PKS3_lllllS6_fii,@function
_ZN4vllm15rms_norm_kernelIN3c108BFloat16ELi8ELi2EEEvPT_PKS3_lllllS6_fii: ; @_ZN4vllm15rms_norm_kernelIN3c108BFloat16ELi8ELi2EEEvPT_PKS3_lllllS6_fii
; %bb.0:
	s_clause 0x2
	s_load_b128 s[4:7], s[0:1], 0x8
	s_load_b32 s2, s[0:1], 0x5c
	s_load_b32 s3, s[0:1], 0x48
	s_mov_b32 s9, 0
	s_waitcnt lgkmcnt(0)
	s_mul_i32 s7, s15, s7
	s_mul_hi_u32 s8, s15, s6
	s_mul_i32 s6, s15, s6
	s_add_i32 s7, s8, s7
	s_delay_alu instid0(SALU_CYCLE_1) | instskip(NEXT) | instid1(SALU_CYCLE_1)
	s_lshl_b64 s[6:7], s[6:7], 1
	s_add_u32 s12, s4, s6
	s_addc_u32 s13, s5, s7
	s_and_b32 s8, s12, 15
	s_and_b32 s14, s2, 0xffff
	s_cmp_lg_u64 s[8:9], 0
	s_cselect_b32 s2, -1, 0
	s_and_b32 s8, s3, 7
	s_delay_alu instid0(SALU_CYCLE_1) | instskip(SKIP_1) | instid1(SALU_CYCLE_1)
	s_cmp_lg_u32 s8, 0
	s_cselect_b32 s8, -1, 0
	s_or_b32 s2, s2, s8
	s_delay_alu instid0(SALU_CYCLE_1)
	s_and_b32 vcc_lo, exec_lo, s2
	s_cbranch_vccz .LBB11_14
; %bb.1:
	s_sub_i32 s2, 0, s12
	v_mov_b32_e32 v4, 0
	s_bfe_u32 s2, s2, 0x30001
	s_mov_b32 s9, exec_lo
	s_min_i32 s8, s2, s3
	s_delay_alu instid0(SALU_CYCLE_1)
	v_cmpx_gt_i32_e64 s8, v0
	s_cbranch_execz .LBB11_5
; %bb.2:
	v_dual_mov_b32 v4, 0 :: v_dual_lshlrev_b32 v1, 1, v0
	s_add_u32 s2, s4, s6
	s_addc_u32 s10, s5, s7
	v_mov_b32_e32 v3, v0
	s_delay_alu instid0(VALU_DEP_2) | instskip(NEXT) | instid1(VALU_DEP_1)
	v_add_co_u32 v1, s2, s2, v1
	v_add_co_ci_u32_e64 v2, null, s10, 0, s2
	s_mov_b32 s10, 0
	s_lshl_b32 s11, s14, 1
.LBB11_3:                               ; =>This Inner Loop Header: Depth=1
	global_load_u16 v5, v[1:2], off
	v_add_co_u32 v1, vcc_lo, v1, s11
	v_add_co_ci_u32_e32 v2, vcc_lo, 0, v2, vcc_lo
	s_waitcnt vmcnt(0)
	v_lshlrev_b32_e32 v5, 16, v5
	s_delay_alu instid0(VALU_DEP_1) | instskip(NEXT) | instid1(VALU_DEP_1)
	v_dual_fmac_f32 v4, v5, v5 :: v_dual_add_nc_u32 v3, s14, v3
	v_cmp_le_i32_e64 s2, s8, v3
	s_delay_alu instid0(VALU_DEP_1) | instskip(NEXT) | instid1(SALU_CYCLE_1)
	s_or_b32 s10, s2, s10
	s_and_not1_b32 exec_lo, exec_lo, s10
	s_cbranch_execnz .LBB11_3
; %bb.4:
	s_or_b32 exec_lo, exec_lo, s10
.LBB11_5:
	s_delay_alu instid0(SALU_CYCLE_1)
	s_or_b32 exec_lo, exec_lo, s9
	s_sub_i32 s10, s3, s8
	s_ashr_i32 s9, s8, 31
	s_ashr_i32 s2, s10, 31
	s_mov_b32 s16, exec_lo
	s_lshr_b32 s2, s2, 29
	s_delay_alu instid0(SALU_CYCLE_1) | instskip(NEXT) | instid1(SALU_CYCLE_1)
	s_add_i32 s2, s10, s2
	s_ashr_i32 s11, s2, 3
	s_delay_alu instid0(SALU_CYCLE_1)
	v_cmpx_gt_i32_e64 s11, v0
	s_cbranch_execz .LBB11_9
; %bb.6:
	s_lshl_b64 s[18:19], s[8:9], 1
	v_lshlrev_b32_e32 v1, 4, v0
	s_add_u32 s2, s4, s18
	s_addc_u32 s17, s5, s19
	s_add_u32 s2, s2, s6
	s_addc_u32 s17, s17, s7
	v_add_co_u32 v1, s2, s2, v1
	s_delay_alu instid0(VALU_DEP_1) | instskip(SKIP_1) | instid1(VALU_DEP_3)
	v_add_co_ci_u32_e64 v2, null, s17, 0, s2
	v_mov_b32_e32 v3, v0
	v_add_co_u32 v1, vcc_lo, v1, 8
	s_delay_alu instid0(VALU_DEP_3)
	v_add_co_ci_u32_e32 v2, vcc_lo, 0, v2, vcc_lo
	s_mov_b32 s17, 0
	s_lshl_b32 s18, s14, 4
	.p2align	6
.LBB11_7:                               ; =>This Inner Loop Header: Depth=1
	global_load_b128 v[5:8], v[1:2], off offset:-8
	v_add_co_u32 v1, vcc_lo, v1, s18
	v_add_co_ci_u32_e32 v2, vcc_lo, 0, v2, vcc_lo
	v_add_nc_u32_e32 v3, s14, v3
	s_delay_alu instid0(VALU_DEP_1) | instskip(NEXT) | instid1(VALU_DEP_1)
	v_cmp_le_i32_e64 s2, s11, v3
	s_or_b32 s17, s2, s17
	s_waitcnt vmcnt(0)
	v_lshlrev_b32_e32 v9, 16, v5
	v_and_b32_e32 v5, 0xffff0000, v5
	s_delay_alu instid0(VALU_DEP_2) | instskip(NEXT) | instid1(VALU_DEP_1)
	v_dual_fmac_f32 v4, v9, v9 :: v_dual_lshlrev_b32 v9, 16, v6
	v_dual_fmac_f32 v4, v5, v5 :: v_dual_and_b32 v5, 0xffff0000, v6
	v_lshlrev_b32_e32 v6, 16, v7
	s_delay_alu instid0(VALU_DEP_2) | instskip(NEXT) | instid1(VALU_DEP_1)
	v_fmac_f32_e32 v4, v9, v9
	v_dual_fmac_f32 v4, v5, v5 :: v_dual_and_b32 v5, 0xffff0000, v7
	s_delay_alu instid0(VALU_DEP_1) | instskip(SKIP_1) | instid1(VALU_DEP_2)
	v_fmac_f32_e32 v4, v6, v6
	v_lshlrev_b32_e32 v6, 16, v8
	v_dual_fmac_f32 v4, v5, v5 :: v_dual_and_b32 v5, 0xffff0000, v8
	s_delay_alu instid0(VALU_DEP_1) | instskip(NEXT) | instid1(VALU_DEP_1)
	v_fmac_f32_e32 v4, v6, v6
	v_fmac_f32_e32 v4, v5, v5
	s_and_not1_b32 exec_lo, exec_lo, s17
	s_cbranch_execnz .LBB11_7
; %bb.8:
	s_or_b32 exec_lo, exec_lo, s17
.LBB11_9:
	s_delay_alu instid0(SALU_CYCLE_1) | instskip(SKIP_2) | instid1(VALU_DEP_1)
	s_or_b32 exec_lo, exec_lo, s16
	v_lshl_add_u32 v1, s11, 3, v0
	s_mov_b32 s11, exec_lo
	v_cmpx_gt_i32_e64 s10, v1
	s_cbranch_execz .LBB11_13
; %bb.10:
	v_ashrrev_i32_e32 v2, 31, v1
	s_lshl_b64 s[8:9], s[8:9], 1
	s_delay_alu instid0(SALU_CYCLE_1) | instskip(SKIP_1) | instid1(VALU_DEP_1)
	s_add_u32 s2, s6, s8
	s_addc_u32 s8, s7, s9
	v_lshlrev_b64 v[2:3], 1, v[1:2]
	s_add_u32 s2, s4, s2
	s_addc_u32 s8, s5, s8
	s_lshl_b32 s9, s14, 1
	s_delay_alu instid0(VALU_DEP_1) | instskip(NEXT) | instid1(VALU_DEP_2)
	v_add_co_u32 v2, vcc_lo, s2, v2
	v_add_co_ci_u32_e32 v3, vcc_lo, s8, v3, vcc_lo
	s_mov_b32 s8, 0
.LBB11_11:                              ; =>This Inner Loop Header: Depth=1
	global_load_u16 v5, v[2:3], off
	v_add_nc_u32_e32 v1, s14, v1
	v_add_co_u32 v2, vcc_lo, v2, s9
	v_add_co_ci_u32_e32 v3, vcc_lo, 0, v3, vcc_lo
	s_delay_alu instid0(VALU_DEP_3) | instskip(NEXT) | instid1(VALU_DEP_1)
	v_cmp_le_i32_e64 s2, s10, v1
	s_or_b32 s8, s2, s8
	s_waitcnt vmcnt(0)
	v_lshlrev_b32_e32 v5, 16, v5
	s_delay_alu instid0(VALU_DEP_1)
	v_fmac_f32_e32 v4, v5, v5
	s_and_not1_b32 exec_lo, exec_lo, s8
	s_cbranch_execnz .LBB11_11
; %bb.12:
	s_or_b32 exec_lo, exec_lo, s8
.LBB11_13:
	s_delay_alu instid0(SALU_CYCLE_1)
	s_or_b32 exec_lo, exec_lo, s11
	s_branch .LBB11_20
.LBB11_14:
                                        ; implicit-def: $vgpr4
	s_cbranch_execz .LBB11_20
; %bb.15:
	v_mov_b32_e32 v4, 0
	s_ashr_i32 s9, s3, 3
	s_mov_b32 s8, exec_lo
	v_cmpx_gt_i32_e64 s9, v0
	s_cbranch_execz .LBB11_19
; %bb.16:
	v_dual_mov_b32 v4, 0 :: v_dual_lshlrev_b32 v1, 4, v0
	s_add_u32 s2, s4, s6
	s_addc_u32 s4, s5, s7
	v_mov_b32_e32 v3, v0
	s_delay_alu instid0(VALU_DEP_2) | instskip(NEXT) | instid1(VALU_DEP_1)
	v_add_co_u32 v1, s2, s2, v1
	v_add_co_ci_u32_e64 v2, null, s4, 0, s2
	s_mov_b32 s4, 0
	s_delay_alu instid0(VALU_DEP_2) | instskip(NEXT) | instid1(VALU_DEP_2)
	v_add_co_u32 v1, vcc_lo, v1, 8
	v_add_co_ci_u32_e32 v2, vcc_lo, 0, v2, vcc_lo
	s_lshl_b32 s5, s14, 4
	.p2align	6
.LBB11_17:                              ; =>This Inner Loop Header: Depth=1
	global_load_b128 v[5:8], v[1:2], off offset:-8
	v_add_co_u32 v1, vcc_lo, v1, s5
	v_add_co_ci_u32_e32 v2, vcc_lo, 0, v2, vcc_lo
	v_add_nc_u32_e32 v3, s14, v3
	s_delay_alu instid0(VALU_DEP_1) | instskip(NEXT) | instid1(VALU_DEP_1)
	v_cmp_le_i32_e64 s2, s9, v3
	s_or_b32 s4, s2, s4
	s_waitcnt vmcnt(0)
	v_lshlrev_b32_e32 v9, 16, v5
	v_and_b32_e32 v5, 0xffff0000, v5
	s_delay_alu instid0(VALU_DEP_2) | instskip(NEXT) | instid1(VALU_DEP_1)
	v_dual_fmac_f32 v4, v9, v9 :: v_dual_lshlrev_b32 v9, 16, v6
	v_dual_fmac_f32 v4, v5, v5 :: v_dual_and_b32 v5, 0xffff0000, v6
	v_lshlrev_b32_e32 v6, 16, v7
	s_delay_alu instid0(VALU_DEP_2) | instskip(NEXT) | instid1(VALU_DEP_1)
	v_fmac_f32_e32 v4, v9, v9
	v_dual_fmac_f32 v4, v5, v5 :: v_dual_and_b32 v5, 0xffff0000, v7
	s_delay_alu instid0(VALU_DEP_1) | instskip(SKIP_1) | instid1(VALU_DEP_2)
	v_fmac_f32_e32 v4, v6, v6
	v_lshlrev_b32_e32 v6, 16, v8
	v_dual_fmac_f32 v4, v5, v5 :: v_dual_and_b32 v5, 0xffff0000, v8
	s_delay_alu instid0(VALU_DEP_1) | instskip(NEXT) | instid1(VALU_DEP_1)
	v_fmac_f32_e32 v4, v6, v6
	v_fmac_f32_e32 v4, v5, v5
	s_and_not1_b32 exec_lo, exec_lo, s4
	s_cbranch_execnz .LBB11_17
; %bb.18:
	s_or_b32 exec_lo, exec_lo, s4
.LBB11_19:
	s_delay_alu instid0(SALU_CYCLE_1)
	s_or_b32 exec_lo, exec_lo, s8
.LBB11_20:
	v_mbcnt_lo_u32_b32 v1, -1, 0
	v_and_b32_e32 v3, 0x3e0, v0
	s_mov_b32 s2, exec_lo
	s_delay_alu instid0(VALU_DEP_2) | instskip(NEXT) | instid1(VALU_DEP_2)
	v_cmp_ne_u32_e32 vcc_lo, 31, v1
	v_sub_nc_u32_e64 v12, s14, v3 clamp
	v_add_nc_u32_e32 v3, 1, v1
	v_add_co_ci_u32_e32 v2, vcc_lo, 0, v1, vcc_lo
	v_cmp_gt_u32_e32 vcc_lo, 30, v1
	s_delay_alu instid0(VALU_DEP_2)
	v_lshlrev_b32_e32 v2, 2, v2
	v_cndmask_b32_e64 v6, 0, 1, vcc_lo
	v_cmp_lt_u32_e32 vcc_lo, v3, v12
	ds_bpermute_b32 v5, v2, v4
	s_waitcnt lgkmcnt(0)
	v_dual_add_f32 v7, v4, v5 :: v_dual_lshlrev_b32 v6, 1, v6
	s_delay_alu instid0(VALU_DEP_1) | instskip(NEXT) | instid1(VALU_DEP_2)
	v_cndmask_b32_e32 v7, v4, v7, vcc_lo
	v_add_lshl_u32 v5, v6, v1, 2
	v_cmp_gt_u32_e32 vcc_lo, 28, v1
	ds_bpermute_b32 v6, v5, v7
	v_cndmask_b32_e64 v4, 0, 1, vcc_lo
	s_delay_alu instid0(VALU_DEP_1) | instskip(SKIP_1) | instid1(VALU_DEP_1)
	v_lshlrev_b32_e32 v8, 2, v4
	v_add_nc_u32_e32 v4, 2, v1
	v_cmp_lt_u32_e32 vcc_lo, v4, v12
	s_waitcnt lgkmcnt(0)
	v_add_f32_e32 v9, v7, v6
	v_add_lshl_u32 v6, v8, v1, 2
	s_delay_alu instid0(VALU_DEP_2) | instskip(SKIP_2) | instid1(VALU_DEP_1)
	v_cndmask_b32_e32 v9, v7, v9, vcc_lo
	v_cmp_gt_u32_e32 vcc_lo, 24, v1
	v_cndmask_b32_e64 v7, 0, 1, vcc_lo
	v_lshlrev_b32_e32 v10, 3, v7
	ds_bpermute_b32 v8, v6, v9
	v_add_nc_u32_e32 v7, 4, v1
	s_delay_alu instid0(VALU_DEP_1) | instskip(SKIP_3) | instid1(VALU_DEP_2)
	v_cmp_lt_u32_e32 vcc_lo, v7, v12
	s_waitcnt lgkmcnt(0)
	v_add_f32_e32 v11, v9, v8
	v_add_lshl_u32 v8, v10, v1, 2
	v_cndmask_b32_e32 v11, v9, v11, vcc_lo
	v_cmp_gt_u32_e32 vcc_lo, 16, v1
	ds_bpermute_b32 v10, v8, v11
	v_cndmask_b32_e64 v9, 0, 1, vcc_lo
	s_delay_alu instid0(VALU_DEP_1) | instskip(SKIP_1) | instid1(VALU_DEP_1)
	v_lshlrev_b32_e32 v13, 4, v9
	v_add_nc_u32_e32 v9, 8, v1
	v_cmp_lt_u32_e32 vcc_lo, v9, v12
	s_waitcnt lgkmcnt(0)
	v_add_f32_e32 v14, v11, v10
	v_add_lshl_u32 v10, v13, v1, 2
	s_delay_alu instid0(VALU_DEP_2)
	v_cndmask_b32_e32 v13, v11, v14, vcc_lo
	v_add_nc_u32_e32 v11, 16, v1
	ds_bpermute_b32 v14, v10, v13
	v_cmp_lt_u32_e32 vcc_lo, v11, v12
	s_waitcnt lgkmcnt(0)
	v_add_f32_e32 v14, v13, v14
	s_delay_alu instid0(VALU_DEP_1)
	v_cndmask_b32_e32 v12, v13, v14, vcc_lo
	v_cmpx_eq_u32_e32 0, v1
	s_cbranch_execz .LBB11_22
; %bb.21:
	v_lshrrev_b32_e32 v13, 3, v0
	s_delay_alu instid0(VALU_DEP_1)
	v_and_b32_e32 v13, 0x7c, v13
	ds_store_b32 v13, v12
.LBB11_22:
	s_or_b32 exec_lo, exec_lo, s2
	s_delay_alu instid0(SALU_CYCLE_1)
	s_mov_b32 s2, exec_lo
	s_waitcnt lgkmcnt(0)
	s_barrier
	buffer_gl0_inv
	v_cmpx_gt_u32_e32 32, v0
	s_cbranch_execz .LBB11_24
; %bb.23:
	v_lshlrev_b32_e32 v1, 2, v1
	s_add_i32 s4, s14, 31
	s_delay_alu instid0(SALU_CYCLE_1) | instskip(NEXT) | instid1(SALU_CYCLE_1)
	s_lshr_b32 s4, s4, 5
	v_cmp_gt_u32_e32 vcc_lo, s4, v3
	ds_load_b32 v1, v1
	s_waitcnt lgkmcnt(0)
	ds_bpermute_b32 v2, v2, v1
	s_waitcnt lgkmcnt(0)
	v_add_f32_e32 v2, v1, v2
	s_delay_alu instid0(VALU_DEP_1) | instskip(SKIP_4) | instid1(VALU_DEP_1)
	v_cndmask_b32_e32 v1, v1, v2, vcc_lo
	v_cmp_gt_u32_e32 vcc_lo, s4, v4
	ds_bpermute_b32 v2, v5, v1
	s_waitcnt lgkmcnt(0)
	v_add_f32_e32 v2, v1, v2
	v_cndmask_b32_e32 v1, v1, v2, vcc_lo
	v_cmp_gt_u32_e32 vcc_lo, s4, v7
	ds_bpermute_b32 v2, v6, v1
	s_waitcnt lgkmcnt(0)
	v_add_f32_e32 v2, v1, v2
	s_delay_alu instid0(VALU_DEP_1) | instskip(SKIP_4) | instid1(VALU_DEP_1)
	v_cndmask_b32_e32 v1, v1, v2, vcc_lo
	v_cmp_gt_u32_e32 vcc_lo, s4, v9
	ds_bpermute_b32 v2, v8, v1
	s_waitcnt lgkmcnt(0)
	v_add_f32_e32 v2, v1, v2
	v_cndmask_b32_e32 v1, v1, v2, vcc_lo
	v_cmp_gt_u32_e32 vcc_lo, s4, v11
	ds_bpermute_b32 v2, v10, v1
	s_waitcnt lgkmcnt(0)
	v_add_f32_e32 v2, v1, v2
	s_delay_alu instid0(VALU_DEP_1)
	v_cndmask_b32_e32 v12, v1, v2, vcc_lo
.LBB11_24:
	s_or_b32 exec_lo, exec_lo, s2
	s_delay_alu instid0(SALU_CYCLE_1)
	s_mov_b32 s2, exec_lo
	v_cmpx_eq_u32_e32 0, v0
	s_cbranch_execz .LBB11_26
; %bb.25:
	v_cvt_f32_i32_e32 v1, s3
	s_load_b32 s4, s[0:1], 0x40
	s_delay_alu instid0(VALU_DEP_1) | instskip(SKIP_1) | instid1(VALU_DEP_2)
	v_div_scale_f32 v2, null, v1, v1, v12
	v_div_scale_f32 v5, vcc_lo, v12, v1, v12
	v_rcp_f32_e32 v3, v2
	s_waitcnt_depctr 0xfff
	v_fma_f32 v4, -v2, v3, 1.0
	s_delay_alu instid0(VALU_DEP_1) | instskip(NEXT) | instid1(VALU_DEP_1)
	v_fmac_f32_e32 v3, v4, v3
	v_mul_f32_e32 v4, v5, v3
	s_delay_alu instid0(VALU_DEP_1) | instskip(NEXT) | instid1(VALU_DEP_1)
	v_fma_f32 v6, -v2, v4, v5
	v_fmac_f32_e32 v4, v6, v3
	s_delay_alu instid0(VALU_DEP_1) | instskip(NEXT) | instid1(VALU_DEP_1)
	v_fma_f32 v2, -v2, v4, v5
	v_div_fmas_f32 v2, v2, v3, v4
	s_delay_alu instid0(VALU_DEP_1) | instskip(SKIP_1) | instid1(VALU_DEP_1)
	v_div_fixup_f32 v1, v2, v1, v12
	s_waitcnt lgkmcnt(0)
	v_add_f32_e32 v1, s4, v1
	s_delay_alu instid0(VALU_DEP_1) | instskip(SKIP_1) | instid1(VALU_DEP_2)
	v_mul_f32_e32 v2, 0x4b800000, v1
	v_cmp_gt_f32_e32 vcc_lo, 0x800000, v1
	v_cndmask_b32_e32 v1, v1, v2, vcc_lo
	s_delay_alu instid0(VALU_DEP_1) | instskip(SKIP_2) | instid1(VALU_DEP_1)
	v_rsq_f32_e32 v1, v1
	s_waitcnt_depctr 0xfff
	v_mul_f32_e32 v2, 0x45800000, v1
	v_dual_cndmask_b32 v1, v1, v2 :: v_dual_mov_b32 v2, 0
	ds_store_b32 v2, v1 offset:128
.LBB11_26:
	s_or_b32 exec_lo, exec_lo, s2
	s_ashr_i32 s2, s3, 31
	s_waitcnt lgkmcnt(0)
	s_lshr_b32 s2, s2, 29
	s_barrier
	s_add_i32 s2, s3, s2
	buffer_gl0_inv
	s_ashr_i32 s16, s2, 3
	s_mov_b32 s2, exec_lo
	v_cmpx_gt_i32_e64 s16, v0
	s_cbranch_execz .LBB11_36
; %bb.27:
	v_cvt_f32_u32_e32 v1, s14
	s_clause 0x1
	s_load_b64 s[4:5], s[0:1], 0x0
	s_load_b64 s[8:9], s[0:1], 0x38
	s_mul_i32 s10, s15, s3
	s_mov_b32 s11, 0
	v_rcp_iflag_f32_e32 v1, v1
	s_lshl_b64 s[0:1], s[10:11], 1
	v_add_nc_u32_e32 v3, s14, v0
	s_delay_alu instid0(VALU_DEP_1) | instskip(SKIP_3) | instid1(VALU_DEP_1)
	v_cmp_gt_i32_e32 vcc_lo, s16, v3
	v_max_i32_e32 v4, s16, v3
	s_waitcnt_depctr 0xfff
	v_mul_f32_e32 v1, 0x4f7ffffe, v1
	v_cvt_u32_f32_e32 v1, v1
	s_waitcnt lgkmcnt(0)
	s_add_u32 s10, s4, s0
	s_addc_u32 s15, s5, s1
	s_sub_i32 s0, 0, s14
	s_cmp_lg_u32 s14, 1
	v_mul_lo_u32 v2, s0, v1
	v_add_co_ci_u32_e64 v3, s0, s14, v0, vcc_lo
	s_delay_alu instid0(VALU_DEP_1) | instskip(NEXT) | instid1(VALU_DEP_3)
	v_sub_nc_u32_e32 v3, v4, v3
	v_mul_hi_u32 v2, v1, v2
	s_delay_alu instid0(VALU_DEP_1) | instskip(NEXT) | instid1(VALU_DEP_1)
	v_add_nc_u32_e32 v1, v1, v2
	v_mul_hi_u32 v1, v3, v1
	s_delay_alu instid0(VALU_DEP_1) | instskip(NEXT) | instid1(VALU_DEP_1)
	v_mul_lo_u32 v2, v1, s14
	v_sub_nc_u32_e32 v2, v3, v2
	v_add_nc_u32_e32 v3, 1, v1
	s_delay_alu instid0(VALU_DEP_2) | instskip(SKIP_1) | instid1(VALU_DEP_1)
	v_subrev_nc_u32_e32 v4, s14, v2
	v_cmp_le_u32_e64 s0, s14, v2
	v_cndmask_b32_e64 v1, v1, v3, s0
	s_delay_alu instid0(VALU_DEP_3) | instskip(NEXT) | instid1(VALU_DEP_2)
	v_cndmask_b32_e64 v2, v2, v4, s0
	v_dual_mov_b32 v3, 0 :: v_dual_add_nc_u32 v4, 1, v1
	s_delay_alu instid0(VALU_DEP_2) | instskip(SKIP_3) | instid1(VALU_DEP_1)
	v_cmp_le_u32_e64 s0, s14, v2
	ds_load_b32 v5, v3 offset:128
	v_cndmask_b32_e64 v1, v1, v4, s0
	s_cselect_b32 s0, -1, 0
	v_add_co_ci_u32_e32 v6, vcc_lo, 1, v1, vcc_lo
	s_delay_alu instid0(VALU_DEP_1) | instskip(SKIP_1) | instid1(SALU_CYCLE_1)
	v_cmp_gt_u32_e32 vcc_lo, 2, v6
	s_or_b32 s0, vcc_lo, s0
	s_and_saveexec_b32 s1, s0
	s_delay_alu instid0(SALU_CYCLE_1)
	s_xor_b32 s0, exec_lo, s1
	s_cbranch_execnz .LBB11_30
; %bb.28:
	s_and_not1_saveexec_b32 s17, s0
	s_cbranch_execnz .LBB11_31
.LBB11_29:
	s_or_b32 exec_lo, exec_lo, s17
	s_delay_alu instid0(SALU_CYCLE_1)
	s_and_b32 exec_lo, exec_lo, s11
	s_cbranch_execnz .LBB11_34
	s_branch .LBB11_36
.LBB11_30:
	s_mov_b32 s11, exec_lo
                                        ; implicit-def: $vgpr6
	s_and_not1_saveexec_b32 s17, s0
	s_cbranch_execz .LBB11_29
.LBB11_31:
	v_dual_mov_b32 v2, 0 :: v_dual_and_b32 v7, -2, v6
	v_add_nc_u32_e32 v1, 1, v0
	s_mov_b32 s18, 0
	s_delay_alu instid0(VALU_DEP_2) | instskip(NEXT) | instid1(VALU_DEP_2)
	v_mov_b32_e32 v8, v7
	v_dual_mov_b32 v4, v1 :: v_dual_mov_b32 v3, v0
.LBB11_32:                              ; =>This Inner Loop Header: Depth=1
	s_delay_alu instid0(VALU_DEP_1) | instskip(NEXT) | instid1(VALU_DEP_1)
	v_dual_mov_b32 v1, v3 :: v_dual_add_nc_u32 v8, -2, v8
	v_lshlrev_b64 v[25:26], 4, v[1:2]
	s_delay_alu instid0(VALU_DEP_1) | instskip(NEXT) | instid1(VALU_DEP_2)
	v_add_co_u32 v9, vcc_lo, s12, v25
	v_add_co_ci_u32_e32 v10, vcc_lo, s13, v26, vcc_lo
	v_add_co_u32 v13, vcc_lo, s8, v25
	v_add_co_ci_u32_e32 v14, vcc_lo, s9, v26, vcc_lo
	v_add_co_u32 v25, s0, s10, v25
	global_load_b128 v[9:12], v[9:10], off
	global_load_b128 v[13:16], v[13:14], off
	v_mov_b32_e32 v1, v4
	v_add_co_ci_u32_e64 v26, s0, s15, v26, s0
	v_add_nc_u32_e32 v4, 2, v4
	s_waitcnt vmcnt(1)
	v_lshlrev_b32_e32 v30, 16, v10
	v_lshlrev_b64 v[27:28], 4, v[1:2]
	v_and_b32_e32 v10, 0xffff0000, v10
	v_lshlrev_b32_e32 v1, 16, v9
	s_waitcnt lgkmcnt(0)
	v_dual_mul_f32 v30, v5, v30 :: v_dual_add_nc_u32 v3, 2, v3
	s_delay_alu instid0(VALU_DEP_4)
	v_add_co_u32 v17, vcc_lo, s12, v27
	v_add_co_ci_u32_e32 v18, vcc_lo, s13, v28, vcc_lo
	v_add_co_u32 v21, vcc_lo, s8, v27
	v_add_co_ci_u32_e32 v22, vcc_lo, s9, v28, vcc_lo
	global_load_b128 v[17:20], v[17:18], off
	global_load_b128 v[21:24], v[21:22], off
	v_mul_f32_e32 v10, v5, v10
	v_mul_f32_e32 v1, v5, v1
	v_bfe_u32 v46, v30, 16, 1
	v_add_co_u32 v27, s0, s10, v27
	s_delay_alu instid0(VALU_DEP_4) | instskip(NEXT) | instid1(VALU_DEP_4)
	v_bfe_u32 v47, v10, 16, 1
	v_bfe_u32 v44, v1, 16, 1
	s_delay_alu instid0(VALU_DEP_4) | instskip(SKIP_1) | instid1(VALU_DEP_4)
	v_add3_u32 v46, v30, v46, 0x7fff
	v_add_co_ci_u32_e64 v28, s0, s15, v28, s0
	v_add3_u32 v47, v10, v47, 0x7fff
	s_delay_alu instid0(VALU_DEP_4) | instskip(NEXT) | instid1(VALU_DEP_4)
	v_add3_u32 v44, v1, v44, 0x7fff
	v_and_b32_e32 v46, 0xffff0000, v46
	v_cmp_o_f32_e64 s1, v30, v30
	v_cmp_o_f32_e64 s2, v10, v10
	v_and_b32_e32 v47, 0xffff0000, v47
	v_and_b32_e32 v44, 0xffff0000, v44
	v_cmp_o_f32_e64 s7, v1, v1
	v_cmp_eq_u32_e32 vcc_lo, 0, v8
	s_or_b32 s18, vcc_lo, s18
	s_waitcnt vmcnt(1)
	v_lshlrev_b32_e32 v42, 16, v20
	v_lshlrev_b32_e32 v35, 16, v16
	v_lshlrev_b32_e32 v36, 16, v17
	v_and_b32_e32 v17, 0xffff0000, v17
	v_lshlrev_b32_e32 v32, 16, v11
	v_lshlrev_b32_e32 v38, 16, v18
	v_mul_f32_e32 v42, v5, v42
	v_and_b32_e32 v18, 0xffff0000, v18
	v_and_b32_e32 v11, 0xffff0000, v11
	v_dual_mul_f32 v36, v5, v36 :: v_dual_lshlrev_b32 v31, 16, v14
	v_lshlrev_b32_e32 v40, 16, v19
	s_delay_alu instid0(VALU_DEP_4) | instskip(NEXT) | instid1(VALU_DEP_4)
	v_mul_f32_e32 v18, v5, v18
	v_dual_mul_f32 v11, v5, v11 :: v_dual_lshlrev_b32 v34, 16, v12
	v_and_b32_e32 v9, 0xffff0000, v9
	v_dual_mul_f32 v38, v5, v38 :: v_dual_lshlrev_b32 v33, 16, v15
	s_delay_alu instid0(VALU_DEP_3) | instskip(NEXT) | instid1(VALU_DEP_3)
	v_mul_f32_e32 v34, v5, v34
	v_dual_mul_f32 v9, v5, v9 :: v_dual_and_b32 v14, 0xffff0000, v14
	v_dual_mul_f32 v40, v5, v40 :: v_dual_and_b32 v15, 0xffff0000, v15
	v_and_b32_e32 v19, 0xffff0000, v19
	v_dual_mul_f32 v17, v5, v17 :: v_dual_and_b32 v12, 0xffff0000, v12
	v_dual_mul_f32 v32, v5, v32 :: v_dual_lshlrev_b32 v29, 16, v13
	v_bfe_u32 v45, v9, 16, 1
	s_delay_alu instid0(VALU_DEP_4) | instskip(NEXT) | instid1(VALU_DEP_4)
	v_mul_f32_e32 v19, v5, v19
	v_dual_mul_f32 v12, v5, v12 :: v_dual_and_b32 v13, 0xffff0000, v13
	s_delay_alu instid0(VALU_DEP_4) | instskip(NEXT) | instid1(VALU_DEP_4)
	v_bfe_u32 v48, v32, 16, 1
	v_add3_u32 v45, v9, v45, 0x7fff
	v_bfe_u32 v56, v40, 16, 1
	v_bfe_u32 v53, v17, 16, 1
	;; [unrolled: 1-line block ×5, first 2 shown]
	v_add3_u32 v48, v32, v48, 0x7fff
	v_bfe_u32 v57, v19, 16, 1
	v_and_b32_e32 v45, 0xffff0000, v45
	v_cmp_o_f32_e64 s0, v9, v9
	v_add3_u32 v10, v40, v56, 0x7fff
	v_add3_u32 v51, v12, v51, 0x7fff
	;; [unrolled: 1-line block ×5, first 2 shown]
	v_and_b32_e32 v48, 0xffff0000, v48
	v_cmp_o_f32_e64 s3, v32, v32
	v_add3_u32 v32, v19, v57, 0x7fff
	v_cmp_o_f32_e64 s6, v12, v12
	v_cndmask_b32_e64 v12, 0x7fc00000, v44, s7
	v_cmp_o_f32_e64 s7, v17, v17
	v_cndmask_b32_e64 v17, 0x7fc00000, v45, s0
	;; [unrolled: 2-line block ×4, first 2 shown]
	v_and_b32_e32 v10, 0xffff0000, v10
	v_cmp_o_f32_e64 s2, v40, v40
	v_cndmask_b32_e64 v40, 0x7fc00000, v48, s3
	s_waitcnt vmcnt(0)
	v_lshlrev_b32_e32 v41, 16, v23
	v_and_b32_e32 v32, 0xffff0000, v32
	v_cmp_o_f32_e64 s3, v19, v19
	v_cndmask_b32_e64 v10, 0x7fc00000, v10, s2
	v_dual_mul_f32 v13, v17, v13 :: v_dual_and_b32 v16, 0xffff0000, v16
	v_mul_f32_e32 v17, v38, v31
	v_mul_f32_e32 v14, v18, v14
	v_dual_mul_f32 v18, v40, v33 :: v_dual_and_b32 v23, 0xffff0000, v23
	v_mul_f32_e32 v10, v10, v41
	v_cndmask_b32_e64 v31, 0x7fc00000, v32, s3
	v_and_b32_e32 v20, 0xffff0000, v20
	v_bfe_u32 v49, v11, 16, 1
	v_bfe_u32 v50, v34, 16, 1
	;; [unrolled: 1-line block ×3, first 2 shown]
	v_mul_f32_e32 v23, v31, v23
	v_dual_mul_f32 v20, v5, v20 :: v_dual_lshlrev_b32 v37, 16, v21
	v_add3_u32 v49, v11, v49, 0x7fff
	v_bfe_u32 v58, v42, 16, 1
	v_add3_u32 v50, v34, v50, 0x7fff
	v_add3_u32 v52, v36, v52, 0x7fff
	v_bfe_u32 v59, v20, 16, 1
	v_and_b32_e32 v49, 0xffff0000, v49
	v_cmp_o_f32_e64 s4, v11, v11
	v_add3_u32 v11, v42, v58, 0x7fff
	v_and_b32_e32 v50, 0xffff0000, v50
	v_cmp_o_f32_e64 s5, v34, v34
	v_add3_u32 v34, v20, v59, 0x7fff
	v_and_b32_e32 v51, 0xffff0000, v51
	v_and_b32_e32 v1, 0xffff0000, v52
	v_and_b32_e32 v44, 0xffff0000, v53
	v_and_b32_e32 v9, 0xffff0000, v9
	v_and_b32_e32 v30, 0xffff0000, v30
	v_cndmask_b32_e64 v19, 0x7fc00000, v49, s4
	v_and_b32_e32 v11, 0xffff0000, v11
	v_cmp_o_f32_e64 s4, v42, v42
	v_cndmask_b32_e64 v42, 0x7fc00000, v50, s5
	v_and_b32_e32 v34, 0xffff0000, v34
	v_cmp_o_f32_e64 s5, v20, v20
	v_cndmask_b32_e64 v20, 0x7fc00000, v51, s6
	v_cmp_o_f32_e64 s6, v36, v36
	v_and_b32_e32 v21, 0xffff0000, v21
	v_dual_mul_f32 v12, v12, v29 :: v_dual_lshlrev_b32 v39, 16, v22
	v_lshlrev_b32_e32 v43, 16, v24
	s_delay_alu instid0(VALU_DEP_4)
	v_cndmask_b32_e64 v1, 0x7fc00000, v1, s6
	v_and_b32_e32 v22, 0xffff0000, v22
	v_cndmask_b32_e64 v29, 0x7fc00000, v44, s7
	v_cndmask_b32_e64 v9, 0x7fc00000, v9, s0
	;; [unrolled: 1-line block ×3, first 2 shown]
	v_mul_f32_e32 v1, v1, v37
	v_mul_f32_e32 v15, v19, v15
	v_cndmask_b32_e64 v11, 0x7fc00000, v11, s4
	v_dual_mul_f32 v19, v42, v35 :: v_dual_and_b32 v24, 0xffff0000, v24
	v_cndmask_b32_e64 v32, 0x7fc00000, v34, s5
	s_delay_alu instid0(VALU_DEP_3)
	v_dual_mul_f32 v16, v20, v16 :: v_dual_mul_f32 v11, v11, v43
	v_bfe_u32 v20, v12, 16, 1
	v_mul_f32_e32 v21, v29, v21
	v_bfe_u32 v29, v13, 16, 1
	v_mul_f32_e32 v9, v9, v39
	;; [unrolled: 2-line block ×3, first 2 shown]
	v_bfe_u32 v30, v14, 16, 1
	v_bfe_u32 v34, v18, 16, 1
	;; [unrolled: 1-line block ×4, first 2 shown]
	v_mul_f32_e32 v24, v32, v24
	v_bfe_u32 v32, v16, 16, 1
	v_bfe_u32 v36, v1, 16, 1
	v_add3_u32 v20, v12, v20, 0x7fff
	v_bfe_u32 v37, v21, 16, 1
	v_add3_u32 v29, v13, v29, 0x7fff
	;; [unrolled: 2-line block ×8, first 2 shown]
	v_add3_u32 v36, v1, v36, 0x7fff
	v_lshrrev_b32_e32 v20, 16, v20
	v_add3_u32 v37, v21, v37, 0x7fff
	v_lshrrev_b32_e32 v29, 16, v29
	v_cmp_o_f32_e64 s0, v13, v13
	v_add3_u32 v13, v9, v38, 0x7fff
	v_lshrrev_b32_e32 v33, 16, v33
	v_cmp_o_f32_e64 s1, v17, v17
	;; [unrolled: 3-line block ×7, first 2 shown]
	v_cmp_o_f32_e64 s7, v12, v12
	v_lshrrev_b32_e32 v12, 16, v36
	v_lshrrev_b32_e32 v13, 16, v13
	;; [unrolled: 1-line block ×4, first 2 shown]
	v_cndmask_b32_e64 v16, 0x7fc0, v20, s7
	v_lshrrev_b32_e32 v20, 16, v37
	v_cmp_o_f32_e64 s7, v21, v21
	v_cndmask_b32_e64 v21, 0x7fc0, v29, s0
	v_cmp_o_f32_e64 s0, v9, v9
	v_cndmask_b32_e64 v29, 0x7fc0, v33, s1
	v_lshrrev_b32_e32 v9, 16, v17
	v_cmp_o_f32_e64 s1, v22, v22
	v_cndmask_b32_e64 v17, 0x7fc0, v30, s2
	v_cmp_o_f32_e64 s2, v10, v10
	;; [unrolled: 5-line block ×4, first 2 shown]
	v_cndmask_b32_e64 v20, 0x7fc0, v20, s7
	v_cndmask_b32_e64 v24, 0x7fc0, v13, s0
	;; [unrolled: 1-line block ×8, first 2 shown]
	v_perm_b32 v9, v21, v16, 0x5040100
	v_perm_b32 v10, v17, v29, 0x5040100
	;; [unrolled: 1-line block ×8, first 2 shown]
	s_clause 0x1
	global_store_b128 v[25:26], v[9:12], off
	global_store_b128 v[27:28], v[13:16], off
	s_and_not1_b32 exec_lo, exec_lo, s18
	s_cbranch_execnz .LBB11_32
; %bb.33:
	s_or_b32 exec_lo, exec_lo, s18
	v_cmp_ne_u32_e32 vcc_lo, v6, v7
	v_add_nc_u32_e32 v0, v0, v7
	s_and_not1_b32 s0, s11, exec_lo
	s_and_b32 s1, vcc_lo, exec_lo
	s_delay_alu instid0(SALU_CYCLE_1) | instskip(SKIP_1) | instid1(SALU_CYCLE_1)
	s_or_b32 s11, s0, s1
	s_or_b32 exec_lo, exec_lo, s17
	s_and_b32 exec_lo, exec_lo, s11
	s_cbranch_execz .LBB11_36
.LBB11_34:
	v_mov_b32_e32 v1, 0
	s_waitcnt lgkmcnt(0)
	v_mov_b32_e32 v3, v5
	s_mov_b32 s7, 0
	s_lshl_b32 s11, s14, 4
	v_lshlrev_b64 v[1:2], 4, v[0:1]
.LBB11_35:                              ; =>This Inner Loop Header: Depth=1
	s_delay_alu instid0(VALU_DEP_1) | instskip(NEXT) | instid1(VALU_DEP_2)
	v_add_co_u32 v6, vcc_lo, s12, v1
	v_add_co_ci_u32_e32 v7, vcc_lo, s13, v2, vcc_lo
	v_add_co_u32 v10, vcc_lo, s8, v1
	v_add_co_ci_u32_e32 v11, vcc_lo, s9, v2, vcc_lo
	v_add_co_u32 v14, vcc_lo, s10, v1
	global_load_b128 v[6:9], v[6:7], off
	global_load_b128 v[10:13], v[10:11], off
	v_add_co_ci_u32_e32 v15, vcc_lo, s15, v2, vcc_lo
	s_add_u32 s10, s10, s11
	s_addc_u32 s15, s15, 0
	s_add_u32 s12, s12, s11
	s_addc_u32 s13, s13, 0
	;; [unrolled: 2-line block ×3, first 2 shown]
	s_waitcnt vmcnt(1)
	v_lshlrev_b32_e32 v17, 16, v7
	v_lshlrev_b32_e32 v4, 16, v6
	;; [unrolled: 1-line block ×3, first 2 shown]
	v_and_b32_e32 v6, 0xffff0000, v6
	v_and_b32_e32 v8, 0xffff0000, v8
	s_waitcnt vmcnt(0)
	s_delay_alu instid0(VALU_DEP_3) | instskip(NEXT) | instid1(VALU_DEP_3)
	v_dual_mul_f32 v19, v5, v19 :: v_dual_and_b32 v20, 0xffff0000, v12
	v_dual_mul_f32 v6, v3, v6 :: v_dual_mul_f32 v17, v5, v17
	v_dual_mul_f32 v4, v5, v4 :: v_dual_and_b32 v7, 0xffff0000, v7
	v_add_nc_u32_e32 v0, s14, v0
	s_delay_alu instid0(VALU_DEP_3) | instskip(SKIP_1) | instid1(VALU_DEP_4)
	v_bfe_u32 v24, v6, 16, 1
	v_cmp_o_f32_e64 s6, v6, v6
	v_mul_f32_e32 v7, v3, v7
	v_bfe_u32 v23, v4, 16, 1
	v_cmp_o_f32_e32 vcc_lo, v4, v4
	v_add3_u32 v24, v6, v24, 0x7fff
	v_bfe_u32 v25, v17, 16, 1
	v_bfe_u32 v26, v7, 16, 1
	v_add3_u32 v23, v4, v23, 0x7fff
	v_bfe_u32 v27, v19, 16, 1
	v_and_b32_e32 v24, 0xffff0000, v24
	v_add3_u32 v25, v17, v25, 0x7fff
	v_add3_u32 v26, v7, v26, 0x7fff
	v_and_b32_e32 v23, 0xffff0000, v23
	v_lshlrev_b32_e32 v12, 16, v12
	v_cndmask_b32_e64 v6, 0x7fc00000, v24, s6
	v_lshlrev_b32_e32 v21, 16, v9
	v_and_b32_e32 v9, 0xffff0000, v9
	v_and_b32_e32 v16, 0xffff0000, v10
	v_add3_u32 v27, v19, v27, 0x7fff
	v_cmp_o_f32_e64 s1, v17, v17
	v_cmp_o_f32_e64 s0, v7, v7
	s_delay_alu instid0(VALU_DEP_4) | instskip(SKIP_2) | instid1(VALU_DEP_3)
	v_dual_mul_f32 v9, v3, v9 :: v_dual_mul_f32 v6, v6, v16
	v_dual_mul_f32 v21, v5, v21 :: v_dual_lshlrev_b32 v10, 16, v10
	v_mul_f32_e32 v8, v3, v8
	v_bfe_u32 v30, v9, 16, 1
	v_cmp_o_f32_e64 s4, v9, v9
	v_and_b32_e32 v7, 0xffff0000, v27
	v_bfe_u32 v29, v21, 16, 1
	v_bfe_u32 v28, v8, 16, 1
	v_add3_u32 v30, v9, v30, 0x7fff
	v_cndmask_b32_e32 v9, 0x7fc00000, v23, vcc_lo
	v_and_b32_e32 v18, 0xffff0000, v11
	v_lshlrev_b32_e32 v11, 16, v11
	v_add3_u32 v28, v8, v28, 0x7fff
	v_add3_u32 v29, v21, v29, 0x7fff
	v_cmp_o_f32_e64 s2, v8, v8
	v_cmp_o_f32_e64 s3, v19, v19
	v_and_b32_e32 v19, 0xffff0000, v30
	v_and_b32_e32 v17, 0xffff0000, v28
	;; [unrolled: 1-line block ×3, first 2 shown]
	v_cmp_o_f32_e64 s5, v21, v21
	v_cndmask_b32_e64 v7, 0x7fc00000, v7, s3
	v_and_b32_e32 v22, 0xffff0000, v13
	v_cndmask_b32_e64 v17, 0x7fc00000, v17, s2
	v_and_b32_e32 v4, 0xffff0000, v25
	v_and_b32_e32 v25, 0xffff0000, v26
	v_cndmask_b32_e64 v19, 0x7fc00000, v19, s4
	v_lshlrev_b32_e32 v13, 16, v13
	v_cndmask_b32_e64 v8, 0x7fc00000, v8, s5
	v_cndmask_b32_e64 v4, 0x7fc00000, v4, s1
	;; [unrolled: 1-line block ×3, first 2 shown]
	v_mul_f32_e32 v9, v9, v10
	v_mul_f32_e32 v7, v7, v12
	v_mul_f32_e32 v12, v19, v22
	v_mul_f32_e32 v4, v4, v11
	v_mul_f32_e32 v10, v21, v18
	v_dual_mul_f32 v11, v17, v20 :: v_dual_mul_f32 v8, v8, v13
	v_bfe_u32 v13, v6, 16, 1
	v_bfe_u32 v16, v9, 16, 1
	s_delay_alu instid0(VALU_DEP_4)
	v_bfe_u32 v17, v10, 16, 1
	v_bfe_u32 v18, v4, 16, 1
	;; [unrolled: 1-line block ×6, first 2 shown]
	v_add3_u32 v16, v9, v16, 0x7fff
	v_add3_u32 v13, v6, v13, 0x7fff
	v_add3_u32 v18, v4, v18, 0x7fff
	v_add3_u32 v17, v10, v17, 0x7fff
	v_add3_u32 v20, v7, v20, 0x7fff
	v_add3_u32 v19, v11, v19, 0x7fff
	v_add3_u32 v22, v8, v22, 0x7fff
	v_add3_u32 v21, v12, v21, 0x7fff
	v_lshrrev_b32_e32 v13, 16, v13
	v_lshrrev_b32_e32 v16, 16, v16
	v_cmp_o_f32_e32 vcc_lo, v9, v9
	v_lshrrev_b32_e32 v9, 16, v17
	v_lshrrev_b32_e32 v17, 16, v18
	v_cmp_o_f32_e64 s0, v10, v10
	v_cmp_o_f32_e64 s1, v4, v4
	v_lshrrev_b32_e32 v4, 16, v19
	v_lshrrev_b32_e32 v10, 16, v20
	v_cmp_o_f32_e64 s2, v11, v11
	v_cmp_o_f32_e64 s3, v7, v7
	;; [unrolled: 4-line block ×3, first 2 shown]
	v_cmp_o_f32_e64 s6, v6, v6
	v_cndmask_b32_e64 v12, 0x7fc0, v9, s0
	v_cndmask_b32_e64 v4, 0x7fc0, v4, s2
	;; [unrolled: 1-line block ×7, first 2 shown]
	v_cndmask_b32_e32 v13, 0x7fc0, v16, vcc_lo
	v_cmp_le_i32_e32 vcc_lo, s16, v0
	v_perm_b32 v9, v7, v8, 0x5040100
	v_perm_b32 v8, v4, v10, 0x5040100
	;; [unrolled: 1-line block ×4, first 2 shown]
	s_or_b32 s7, vcc_lo, s7
	global_store_b128 v[14:15], v[6:9], off
	s_and_not1_b32 exec_lo, exec_lo, s7
	s_cbranch_execnz .LBB11_35
.LBB11_36:
	s_nop 0
	s_sendmsg sendmsg(MSG_DEALLOC_VGPRS)
	s_endpgm
	.section	.rodata,"a",@progbits
	.p2align	6, 0x0
	.amdhsa_kernel _ZN4vllm15rms_norm_kernelIN3c108BFloat16ELi8ELi2EEEvPT_PKS3_lllllS6_fii
		.amdhsa_group_segment_fixed_size 132
		.amdhsa_private_segment_fixed_size 0
		.amdhsa_kernarg_size 336
		.amdhsa_user_sgpr_count 15
		.amdhsa_user_sgpr_dispatch_ptr 0
		.amdhsa_user_sgpr_queue_ptr 0
		.amdhsa_user_sgpr_kernarg_segment_ptr 1
		.amdhsa_user_sgpr_dispatch_id 0
		.amdhsa_user_sgpr_private_segment_size 0
		.amdhsa_wavefront_size32 1
		.amdhsa_uses_dynamic_stack 0
		.amdhsa_enable_private_segment 0
		.amdhsa_system_sgpr_workgroup_id_x 1
		.amdhsa_system_sgpr_workgroup_id_y 0
		.amdhsa_system_sgpr_workgroup_id_z 0
		.amdhsa_system_sgpr_workgroup_info 0
		.amdhsa_system_vgpr_workitem_id 0
		.amdhsa_next_free_vgpr 60
		.amdhsa_next_free_sgpr 20
		.amdhsa_reserve_vcc 1
		.amdhsa_float_round_mode_32 0
		.amdhsa_float_round_mode_16_64 0
		.amdhsa_float_denorm_mode_32 3
		.amdhsa_float_denorm_mode_16_64 3
		.amdhsa_dx10_clamp 1
		.amdhsa_ieee_mode 1
		.amdhsa_fp16_overflow 0
		.amdhsa_workgroup_processor_mode 1
		.amdhsa_memory_ordered 1
		.amdhsa_forward_progress 0
		.amdhsa_shared_vgpr_count 0
		.amdhsa_exception_fp_ieee_invalid_op 0
		.amdhsa_exception_fp_denorm_src 0
		.amdhsa_exception_fp_ieee_div_zero 0
		.amdhsa_exception_fp_ieee_overflow 0
		.amdhsa_exception_fp_ieee_underflow 0
		.amdhsa_exception_fp_ieee_inexact 0
		.amdhsa_exception_int_div_zero 0
	.end_amdhsa_kernel
	.section	.text._ZN4vllm15rms_norm_kernelIN3c108BFloat16ELi8ELi2EEEvPT_PKS3_lllllS6_fii,"axG",@progbits,_ZN4vllm15rms_norm_kernelIN3c108BFloat16ELi8ELi2EEEvPT_PKS3_lllllS6_fii,comdat
.Lfunc_end11:
	.size	_ZN4vllm15rms_norm_kernelIN3c108BFloat16ELi8ELi2EEEvPT_PKS3_lllllS6_fii, .Lfunc_end11-_ZN4vllm15rms_norm_kernelIN3c108BFloat16ELi8ELi2EEEvPT_PKS3_lllllS6_fii
                                        ; -- End function
	.section	.AMDGPU.csdata,"",@progbits
; Kernel info:
; codeLenInByte = 5384
; NumSgprs: 22
; NumVgprs: 60
; ScratchSize: 0
; MemoryBound: 0
; FloatMode: 240
; IeeeMode: 1
; LDSByteSize: 132 bytes/workgroup (compile time only)
; SGPRBlocks: 2
; VGPRBlocks: 7
; NumSGPRsForWavesPerEU: 22
; NumVGPRsForWavesPerEU: 60
; Occupancy: 16
; WaveLimiterHint : 0
; COMPUTE_PGM_RSRC2:SCRATCH_EN: 0
; COMPUTE_PGM_RSRC2:USER_SGPR: 15
; COMPUTE_PGM_RSRC2:TRAP_HANDLER: 0
; COMPUTE_PGM_RSRC2:TGID_X_EN: 1
; COMPUTE_PGM_RSRC2:TGID_Y_EN: 0
; COMPUTE_PGM_RSRC2:TGID_Z_EN: 0
; COMPUTE_PGM_RSRC2:TIDIG_COMP_CNT: 0
	.section	.text._ZN4vllm15rms_norm_kernelIN3c108BFloat16ELi4ELi2EEEvPT_PKS3_lllllS6_fii,"axG",@progbits,_ZN4vllm15rms_norm_kernelIN3c108BFloat16ELi4ELi2EEEvPT_PKS3_lllllS6_fii,comdat
	.protected	_ZN4vllm15rms_norm_kernelIN3c108BFloat16ELi4ELi2EEEvPT_PKS3_lllllS6_fii ; -- Begin function _ZN4vllm15rms_norm_kernelIN3c108BFloat16ELi4ELi2EEEvPT_PKS3_lllllS6_fii
	.globl	_ZN4vllm15rms_norm_kernelIN3c108BFloat16ELi4ELi2EEEvPT_PKS3_lllllS6_fii
	.p2align	8
	.type	_ZN4vllm15rms_norm_kernelIN3c108BFloat16ELi4ELi2EEEvPT_PKS3_lllllS6_fii,@function
_ZN4vllm15rms_norm_kernelIN3c108BFloat16ELi4ELi2EEEvPT_PKS3_lllllS6_fii: ; @_ZN4vllm15rms_norm_kernelIN3c108BFloat16ELi4ELi2EEEvPT_PKS3_lllllS6_fii
; %bb.0:
	s_clause 0x2
	s_load_b128 s[4:7], s[0:1], 0x8
	s_load_b32 s8, s[0:1], 0x5c
	s_load_b32 s13, s[0:1], 0x48
	s_waitcnt lgkmcnt(0)
	s_mul_i32 s3, s15, s7
	s_mul_hi_u32 s7, s15, s6
	s_mul_i32 s2, s15, s6
	s_add_i32 s3, s7, s3
	s_delay_alu instid0(SALU_CYCLE_1)
	s_lshl_b64 s[6:7], s[2:3], 1
	s_mov_b32 s3, 0
	s_add_u32 s10, s4, s6
	s_addc_u32 s11, s5, s7
	s_and_b32 s2, s10, 7
	s_and_b32 s12, s8, 0xffff
	s_cmp_lg_u64 s[2:3], 0
	s_cselect_b32 s2, -1, 0
	s_and_b32 s3, s13, 3
	s_delay_alu instid0(SALU_CYCLE_1) | instskip(SKIP_1) | instid1(SALU_CYCLE_1)
	s_cmp_lg_u32 s3, 0
	s_cselect_b32 s3, -1, 0
	s_or_b32 s2, s2, s3
	s_delay_alu instid0(SALU_CYCLE_1)
	s_and_b32 vcc_lo, exec_lo, s2
	s_cbranch_vccz .LBB12_14
; %bb.1:
	s_sub_i32 s2, 0, s10
	v_mov_b32_e32 v4, 0
	s_bfe_u32 s2, s2, 0x20001
	s_mov_b32 s3, exec_lo
	s_min_i32 s8, s2, s13
	s_delay_alu instid0(SALU_CYCLE_1)
	v_cmpx_gt_i32_e64 s8, v0
	s_cbranch_execz .LBB12_5
; %bb.2:
	v_dual_mov_b32 v4, 0 :: v_dual_lshlrev_b32 v1, 1, v0
	s_add_u32 s2, s4, s6
	s_addc_u32 s9, s5, s7
	v_mov_b32_e32 v3, v0
	s_delay_alu instid0(VALU_DEP_2) | instskip(NEXT) | instid1(VALU_DEP_1)
	v_add_co_u32 v1, s2, s2, v1
	v_add_co_ci_u32_e64 v2, null, s9, 0, s2
	s_mov_b32 s9, 0
	s_lshl_b32 s14, s12, 1
.LBB12_3:                               ; =>This Inner Loop Header: Depth=1
	global_load_u16 v5, v[1:2], off
	v_add_co_u32 v1, vcc_lo, v1, s14
	v_add_co_ci_u32_e32 v2, vcc_lo, 0, v2, vcc_lo
	s_waitcnt vmcnt(0)
	v_lshlrev_b32_e32 v5, 16, v5
	s_delay_alu instid0(VALU_DEP_1) | instskip(NEXT) | instid1(VALU_DEP_1)
	v_dual_fmac_f32 v4, v5, v5 :: v_dual_add_nc_u32 v3, s12, v3
	v_cmp_le_i32_e64 s2, s8, v3
	s_delay_alu instid0(VALU_DEP_1) | instskip(NEXT) | instid1(SALU_CYCLE_1)
	s_or_b32 s9, s2, s9
	s_and_not1_b32 exec_lo, exec_lo, s9
	s_cbranch_execnz .LBB12_3
; %bb.4:
	s_or_b32 exec_lo, exec_lo, s9
.LBB12_5:
	s_delay_alu instid0(SALU_CYCLE_1)
	s_or_b32 exec_lo, exec_lo, s3
	s_sub_i32 s3, s13, s8
	s_ashr_i32 s9, s8, 31
	s_ashr_i32 s2, s3, 31
	s_mov_b32 s16, exec_lo
	s_lshr_b32 s2, s2, 30
	s_delay_alu instid0(SALU_CYCLE_1) | instskip(NEXT) | instid1(SALU_CYCLE_1)
	s_add_i32 s2, s3, s2
	s_ashr_i32 s14, s2, 2
	s_delay_alu instid0(SALU_CYCLE_1)
	v_cmpx_gt_i32_e64 s14, v0
	s_cbranch_execz .LBB12_9
; %bb.6:
	s_lshl_b64 s[18:19], s[8:9], 1
	v_lshlrev_b32_e32 v1, 3, v0
	s_add_u32 s2, s4, s18
	s_addc_u32 s17, s5, s19
	s_add_u32 s2, s2, s6
	s_addc_u32 s17, s17, s7
	v_add_co_u32 v1, s2, s2, v1
	s_delay_alu instid0(VALU_DEP_1) | instskip(SKIP_1) | instid1(VALU_DEP_3)
	v_add_co_ci_u32_e64 v2, null, s17, 0, s2
	v_mov_b32_e32 v3, v0
	v_add_co_u32 v1, vcc_lo, v1, 4
	s_delay_alu instid0(VALU_DEP_3)
	v_add_co_ci_u32_e32 v2, vcc_lo, 0, v2, vcc_lo
	s_mov_b32 s17, 0
	s_lshl_b32 s18, s12, 3
	.p2align	6
.LBB12_7:                               ; =>This Inner Loop Header: Depth=1
	global_load_b64 v[5:6], v[1:2], off offset:-4
	v_add_co_u32 v1, vcc_lo, v1, s18
	v_add_co_ci_u32_e32 v2, vcc_lo, 0, v2, vcc_lo
	s_waitcnt vmcnt(0)
	v_lshlrev_b32_e32 v7, 16, v5
	s_delay_alu instid0(VALU_DEP_1) | instskip(NEXT) | instid1(VALU_DEP_1)
	v_dual_fmac_f32 v4, v7, v7 :: v_dual_and_b32 v5, 0xffff0000, v5
	v_dual_fmac_f32 v4, v5, v5 :: v_dual_lshlrev_b32 v7, 16, v6
	s_delay_alu instid0(VALU_DEP_1) | instskip(NEXT) | instid1(VALU_DEP_1)
	v_dual_fmac_f32 v4, v7, v7 :: v_dual_and_b32 v5, 0xffff0000, v6
	v_dual_fmac_f32 v4, v5, v5 :: v_dual_add_nc_u32 v3, s12, v3
	s_delay_alu instid0(VALU_DEP_1) | instskip(NEXT) | instid1(VALU_DEP_1)
	v_cmp_le_i32_e64 s2, s14, v3
	s_or_b32 s17, s2, s17
	s_delay_alu instid0(SALU_CYCLE_1)
	s_and_not1_b32 exec_lo, exec_lo, s17
	s_cbranch_execnz .LBB12_7
; %bb.8:
	s_or_b32 exec_lo, exec_lo, s17
.LBB12_9:
	s_delay_alu instid0(SALU_CYCLE_1) | instskip(SKIP_2) | instid1(VALU_DEP_1)
	s_or_b32 exec_lo, exec_lo, s16
	v_lshl_add_u32 v1, s14, 2, v0
	s_mov_b32 s14, exec_lo
	v_cmpx_gt_i32_e64 s3, v1
	s_cbranch_execz .LBB12_13
; %bb.10:
	v_ashrrev_i32_e32 v2, 31, v1
	s_lshl_b64 s[8:9], s[8:9], 1
	s_delay_alu instid0(SALU_CYCLE_1) | instskip(SKIP_1) | instid1(VALU_DEP_1)
	s_add_u32 s2, s6, s8
	s_addc_u32 s8, s7, s9
	v_lshlrev_b64 v[2:3], 1, v[1:2]
	s_add_u32 s2, s4, s2
	s_addc_u32 s8, s5, s8
	s_lshl_b32 s9, s12, 1
	s_delay_alu instid0(VALU_DEP_1) | instskip(NEXT) | instid1(VALU_DEP_2)
	v_add_co_u32 v2, vcc_lo, s2, v2
	v_add_co_ci_u32_e32 v3, vcc_lo, s8, v3, vcc_lo
	s_mov_b32 s8, 0
.LBB12_11:                              ; =>This Inner Loop Header: Depth=1
	global_load_u16 v5, v[2:3], off
	v_add_nc_u32_e32 v1, s12, v1
	v_add_co_u32 v2, vcc_lo, v2, s9
	v_add_co_ci_u32_e32 v3, vcc_lo, 0, v3, vcc_lo
	s_delay_alu instid0(VALU_DEP_3) | instskip(NEXT) | instid1(VALU_DEP_1)
	v_cmp_le_i32_e64 s2, s3, v1
	s_or_b32 s8, s2, s8
	s_waitcnt vmcnt(0)
	v_lshlrev_b32_e32 v5, 16, v5
	s_delay_alu instid0(VALU_DEP_1)
	v_fmac_f32_e32 v4, v5, v5
	s_and_not1_b32 exec_lo, exec_lo, s8
	s_cbranch_execnz .LBB12_11
; %bb.12:
	s_or_b32 exec_lo, exec_lo, s8
.LBB12_13:
	s_delay_alu instid0(SALU_CYCLE_1)
	s_or_b32 exec_lo, exec_lo, s14
	s_branch .LBB12_20
.LBB12_14:
                                        ; implicit-def: $vgpr4
	s_cbranch_execz .LBB12_20
; %bb.15:
	v_mov_b32_e32 v4, 0
	s_ashr_i32 s8, s13, 2
	s_mov_b32 s3, exec_lo
	v_cmpx_gt_i32_e64 s8, v0
	s_cbranch_execz .LBB12_19
; %bb.16:
	v_dual_mov_b32 v4, 0 :: v_dual_lshlrev_b32 v1, 3, v0
	s_add_u32 s2, s4, s6
	s_addc_u32 s4, s5, s7
	v_mov_b32_e32 v3, v0
	s_delay_alu instid0(VALU_DEP_2) | instskip(NEXT) | instid1(VALU_DEP_1)
	v_add_co_u32 v1, s2, s2, v1
	v_add_co_ci_u32_e64 v2, null, s4, 0, s2
	s_mov_b32 s4, 0
	s_lshl_b32 s5, s12, 3
	.p2align	6
.LBB12_17:                              ; =>This Inner Loop Header: Depth=1
	global_load_b64 v[5:6], v[1:2], off
	v_add_co_u32 v1, vcc_lo, v1, s5
	v_add_co_ci_u32_e32 v2, vcc_lo, 0, v2, vcc_lo
	s_waitcnt vmcnt(0)
	v_and_b32_e32 v8, 0xffff0000, v5
	v_lshlrev_b32_e32 v7, 16, v5
	v_alignbit_b32 v5, v6, v5, 16
	v_and_b32_e32 v6, 0xffff0000, v6
	s_delay_alu instid0(VALU_DEP_2) | instskip(NEXT) | instid1(VALU_DEP_1)
	v_dual_fmac_f32 v4, v7, v7 :: v_dual_and_b32 v5, 0xffff0000, v5
	v_dual_fmac_f32 v4, v8, v8 :: v_dual_add_nc_u32 v3, s12, v3
	s_delay_alu instid0(VALU_DEP_1) | instskip(NEXT) | instid1(VALU_DEP_2)
	v_fmac_f32_e32 v4, v5, v5
	v_cmp_le_i32_e64 s2, s8, v3
	s_delay_alu instid0(VALU_DEP_2) | instskip(NEXT) | instid1(VALU_DEP_2)
	v_fmac_f32_e32 v4, v6, v6
	s_or_b32 s4, s2, s4
	s_delay_alu instid0(SALU_CYCLE_1)
	s_and_not1_b32 exec_lo, exec_lo, s4
	s_cbranch_execnz .LBB12_17
; %bb.18:
	s_or_b32 exec_lo, exec_lo, s4
.LBB12_19:
	s_delay_alu instid0(SALU_CYCLE_1)
	s_or_b32 exec_lo, exec_lo, s3
.LBB12_20:
	v_mbcnt_lo_u32_b32 v1, -1, 0
	v_and_b32_e32 v3, 0x3e0, v0
	s_mov_b32 s2, exec_lo
	s_delay_alu instid0(VALU_DEP_2) | instskip(NEXT) | instid1(VALU_DEP_2)
	v_cmp_ne_u32_e32 vcc_lo, 31, v1
	v_sub_nc_u32_e64 v12, s12, v3 clamp
	v_add_nc_u32_e32 v3, 1, v1
	v_add_co_ci_u32_e32 v2, vcc_lo, 0, v1, vcc_lo
	v_cmp_gt_u32_e32 vcc_lo, 30, v1
	s_delay_alu instid0(VALU_DEP_2)
	v_lshlrev_b32_e32 v2, 2, v2
	v_cndmask_b32_e64 v6, 0, 1, vcc_lo
	v_cmp_lt_u32_e32 vcc_lo, v3, v12
	ds_bpermute_b32 v5, v2, v4
	s_waitcnt lgkmcnt(0)
	v_dual_add_f32 v7, v4, v5 :: v_dual_lshlrev_b32 v6, 1, v6
	s_delay_alu instid0(VALU_DEP_1) | instskip(NEXT) | instid1(VALU_DEP_2)
	v_cndmask_b32_e32 v7, v4, v7, vcc_lo
	v_add_lshl_u32 v5, v6, v1, 2
	v_cmp_gt_u32_e32 vcc_lo, 28, v1
	ds_bpermute_b32 v6, v5, v7
	v_cndmask_b32_e64 v4, 0, 1, vcc_lo
	s_delay_alu instid0(VALU_DEP_1) | instskip(SKIP_1) | instid1(VALU_DEP_1)
	v_lshlrev_b32_e32 v8, 2, v4
	v_add_nc_u32_e32 v4, 2, v1
	v_cmp_lt_u32_e32 vcc_lo, v4, v12
	s_waitcnt lgkmcnt(0)
	v_add_f32_e32 v9, v7, v6
	v_add_lshl_u32 v6, v8, v1, 2
	s_delay_alu instid0(VALU_DEP_2) | instskip(SKIP_2) | instid1(VALU_DEP_1)
	v_cndmask_b32_e32 v9, v7, v9, vcc_lo
	v_cmp_gt_u32_e32 vcc_lo, 24, v1
	v_cndmask_b32_e64 v7, 0, 1, vcc_lo
	v_lshlrev_b32_e32 v10, 3, v7
	ds_bpermute_b32 v8, v6, v9
	v_add_nc_u32_e32 v7, 4, v1
	s_delay_alu instid0(VALU_DEP_1) | instskip(SKIP_3) | instid1(VALU_DEP_2)
	v_cmp_lt_u32_e32 vcc_lo, v7, v12
	s_waitcnt lgkmcnt(0)
	v_add_f32_e32 v11, v9, v8
	v_add_lshl_u32 v8, v10, v1, 2
	v_cndmask_b32_e32 v11, v9, v11, vcc_lo
	v_cmp_gt_u32_e32 vcc_lo, 16, v1
	ds_bpermute_b32 v10, v8, v11
	v_cndmask_b32_e64 v9, 0, 1, vcc_lo
	s_delay_alu instid0(VALU_DEP_1) | instskip(SKIP_1) | instid1(VALU_DEP_1)
	v_lshlrev_b32_e32 v13, 4, v9
	v_add_nc_u32_e32 v9, 8, v1
	v_cmp_lt_u32_e32 vcc_lo, v9, v12
	s_waitcnt lgkmcnt(0)
	v_add_f32_e32 v14, v11, v10
	v_add_lshl_u32 v10, v13, v1, 2
	s_delay_alu instid0(VALU_DEP_2)
	v_cndmask_b32_e32 v13, v11, v14, vcc_lo
	v_add_nc_u32_e32 v11, 16, v1
	ds_bpermute_b32 v14, v10, v13
	v_cmp_lt_u32_e32 vcc_lo, v11, v12
	s_waitcnt lgkmcnt(0)
	v_add_f32_e32 v14, v13, v14
	s_delay_alu instid0(VALU_DEP_1)
	v_cndmask_b32_e32 v12, v13, v14, vcc_lo
	v_cmpx_eq_u32_e32 0, v1
	s_cbranch_execz .LBB12_22
; %bb.21:
	v_lshrrev_b32_e32 v13, 3, v0
	s_delay_alu instid0(VALU_DEP_1)
	v_and_b32_e32 v13, 0x7c, v13
	ds_store_b32 v13, v12
.LBB12_22:
	s_or_b32 exec_lo, exec_lo, s2
	s_delay_alu instid0(SALU_CYCLE_1)
	s_mov_b32 s2, exec_lo
	s_waitcnt lgkmcnt(0)
	s_barrier
	buffer_gl0_inv
	v_cmpx_gt_u32_e32 32, v0
	s_cbranch_execz .LBB12_24
; %bb.23:
	v_lshlrev_b32_e32 v1, 2, v1
	s_add_i32 s3, s12, 31
	s_delay_alu instid0(SALU_CYCLE_1) | instskip(NEXT) | instid1(SALU_CYCLE_1)
	s_lshr_b32 s3, s3, 5
	v_cmp_gt_u32_e32 vcc_lo, s3, v3
	ds_load_b32 v1, v1
	s_waitcnt lgkmcnt(0)
	ds_bpermute_b32 v2, v2, v1
	s_waitcnt lgkmcnt(0)
	v_add_f32_e32 v2, v1, v2
	s_delay_alu instid0(VALU_DEP_1) | instskip(SKIP_4) | instid1(VALU_DEP_1)
	v_cndmask_b32_e32 v1, v1, v2, vcc_lo
	v_cmp_gt_u32_e32 vcc_lo, s3, v4
	ds_bpermute_b32 v2, v5, v1
	s_waitcnt lgkmcnt(0)
	v_add_f32_e32 v2, v1, v2
	v_cndmask_b32_e32 v1, v1, v2, vcc_lo
	v_cmp_gt_u32_e32 vcc_lo, s3, v7
	ds_bpermute_b32 v2, v6, v1
	s_waitcnt lgkmcnt(0)
	v_add_f32_e32 v2, v1, v2
	s_delay_alu instid0(VALU_DEP_1) | instskip(SKIP_4) | instid1(VALU_DEP_1)
	v_cndmask_b32_e32 v1, v1, v2, vcc_lo
	v_cmp_gt_u32_e32 vcc_lo, s3, v9
	ds_bpermute_b32 v2, v8, v1
	s_waitcnt lgkmcnt(0)
	v_add_f32_e32 v2, v1, v2
	v_cndmask_b32_e32 v1, v1, v2, vcc_lo
	v_cmp_gt_u32_e32 vcc_lo, s3, v11
	ds_bpermute_b32 v2, v10, v1
	s_waitcnt lgkmcnt(0)
	v_add_f32_e32 v2, v1, v2
	s_delay_alu instid0(VALU_DEP_1)
	v_cndmask_b32_e32 v12, v1, v2, vcc_lo
.LBB12_24:
	s_or_b32 exec_lo, exec_lo, s2
	s_delay_alu instid0(SALU_CYCLE_1)
	s_mov_b32 s2, exec_lo
	v_cmpx_eq_u32_e32 0, v0
	s_cbranch_execz .LBB12_26
; %bb.25:
	v_cvt_f32_i32_e32 v1, s13
	s_load_b32 s3, s[0:1], 0x40
	s_delay_alu instid0(VALU_DEP_1) | instskip(SKIP_1) | instid1(VALU_DEP_2)
	v_div_scale_f32 v2, null, v1, v1, v12
	v_div_scale_f32 v5, vcc_lo, v12, v1, v12
	v_rcp_f32_e32 v3, v2
	s_waitcnt_depctr 0xfff
	v_fma_f32 v4, -v2, v3, 1.0
	s_delay_alu instid0(VALU_DEP_1) | instskip(NEXT) | instid1(VALU_DEP_1)
	v_fmac_f32_e32 v3, v4, v3
	v_mul_f32_e32 v4, v5, v3
	s_delay_alu instid0(VALU_DEP_1) | instskip(NEXT) | instid1(VALU_DEP_1)
	v_fma_f32 v6, -v2, v4, v5
	v_fmac_f32_e32 v4, v6, v3
	s_delay_alu instid0(VALU_DEP_1) | instskip(NEXT) | instid1(VALU_DEP_1)
	v_fma_f32 v2, -v2, v4, v5
	v_div_fmas_f32 v2, v2, v3, v4
	s_delay_alu instid0(VALU_DEP_1) | instskip(SKIP_1) | instid1(VALU_DEP_1)
	v_div_fixup_f32 v1, v2, v1, v12
	s_waitcnt lgkmcnt(0)
	v_add_f32_e32 v1, s3, v1
	s_delay_alu instid0(VALU_DEP_1) | instskip(SKIP_1) | instid1(VALU_DEP_2)
	v_mul_f32_e32 v2, 0x4b800000, v1
	v_cmp_gt_f32_e32 vcc_lo, 0x800000, v1
	v_cndmask_b32_e32 v1, v1, v2, vcc_lo
	s_delay_alu instid0(VALU_DEP_1) | instskip(SKIP_2) | instid1(VALU_DEP_1)
	v_rsq_f32_e32 v1, v1
	s_waitcnt_depctr 0xfff
	v_mul_f32_e32 v2, 0x45800000, v1
	v_dual_cndmask_b32 v1, v1, v2 :: v_dual_mov_b32 v2, 0
	ds_store_b32 v2, v1 offset:128
.LBB12_26:
	s_or_b32 exec_lo, exec_lo, s2
	s_ashr_i32 s2, s13, 31
	s_waitcnt lgkmcnt(0)
	s_lshr_b32 s2, s2, 30
	s_barrier
	s_add_i32 s2, s13, s2
	buffer_gl0_inv
	s_ashr_i32 s6, s2, 2
	s_mov_b32 s2, exec_lo
	v_cmpx_gt_i32_e64 s6, v0
	s_cbranch_execz .LBB12_29
; %bb.27:
	v_mov_b32_e32 v1, 0
	s_clause 0x1
	s_load_b64 s[8:9], s[0:1], 0x0
	s_load_b64 s[2:3], s[0:1], 0x38
	s_mul_i32 s4, s15, s13
	s_mov_b32 s5, 0
	v_lshlrev_b32_e32 v3, 3, v0
	ds_load_b32 v2, v1 offset:128
	s_lshl_b64 s[0:1], s[4:5], 1
	s_waitcnt lgkmcnt(0)
	s_add_u32 s4, s8, s0
	s_addc_u32 s7, s9, s1
	s_lshl_b32 s8, s12, 3
.LBB12_28:                              ; =>This Inner Loop Header: Depth=1
	v_add_co_u32 v4, vcc_lo, s10, v3
	v_add_co_ci_u32_e32 v5, vcc_lo, s11, v1, vcc_lo
	v_add_co_u32 v6, vcc_lo, s2, v3
	v_add_co_ci_u32_e32 v7, vcc_lo, s3, v1, vcc_lo
	v_add_co_u32 v8, vcc_lo, s4, v3
	global_load_b64 v[4:5], v[4:5], off
	global_load_b64 v[6:7], v[6:7], off
	v_add_co_ci_u32_e32 v9, vcc_lo, s7, v1, vcc_lo
	s_waitcnt vmcnt(1)
	v_lshlrev_b32_e32 v12, 16, v4
	s_waitcnt vmcnt(0)
	v_and_b32_e32 v11, 0xffff0000, v6
	v_lshlrev_b32_e32 v13, 16, v6
	v_alignbit_b32 v6, v7, v6, 16
	v_mul_f32_e32 v12, v2, v12
	s_delay_alu instid0(VALU_DEP_2) | instskip(NEXT) | instid1(VALU_DEP_2)
	v_and_b32_e32 v6, 0xffff0000, v6
	v_bfe_u32 v14, v12, 16, 1
	v_cmp_o_f32_e64 s1, v12, v12
	s_delay_alu instid0(VALU_DEP_2) | instskip(NEXT) | instid1(VALU_DEP_1)
	v_add3_u32 v14, v12, v14, 0x7fff
	v_and_b32_e32 v14, 0xffff0000, v14
	s_delay_alu instid0(VALU_DEP_1) | instskip(SKIP_2) | instid1(VALU_DEP_2)
	v_cndmask_b32_e64 v12, 0x7fc00000, v14, s1
	v_and_b32_e32 v10, 0xffff0000, v4
	v_alignbit_b32 v4, v5, v4, 16
	v_dual_mul_f32 v10, v2, v10 :: v_dual_and_b32 v5, 0xffff0000, v5
	s_delay_alu instid0(VALU_DEP_1) | instskip(NEXT) | instid1(VALU_DEP_2)
	v_dual_mul_f32 v5, v2, v5 :: v_dual_add_nc_u32 v0, s12, v0
	v_bfe_u32 v15, v10, 16, 1
	v_cmp_o_f32_e32 vcc_lo, v10, v10
	s_delay_alu instid0(VALU_DEP_3) | instskip(SKIP_1) | instid1(VALU_DEP_4)
	v_bfe_u32 v16, v5, 16, 1
	v_cmp_o_f32_e64 s0, v5, v5
	v_add3_u32 v15, v10, v15, 0x7fff
	s_delay_alu instid0(VALU_DEP_3) | instskip(NEXT) | instid1(VALU_DEP_2)
	v_add3_u32 v16, v5, v16, 0x7fff
	v_and_b32_e32 v15, 0xffff0000, v15
	s_delay_alu instid0(VALU_DEP_2) | instskip(NEXT) | instid1(VALU_DEP_2)
	v_and_b32_e32 v10, 0xffff0000, v16
	v_cndmask_b32_e32 v14, 0x7fc00000, v15, vcc_lo
	s_delay_alu instid0(VALU_DEP_2) | instskip(NEXT) | instid1(VALU_DEP_2)
	v_cndmask_b32_e64 v10, 0x7fc00000, v10, s0
	v_dual_mul_f32 v11, v14, v11 :: v_dual_and_b32 v4, 0xffff0000, v4
	s_delay_alu instid0(VALU_DEP_1) | instskip(NEXT) | instid1(VALU_DEP_1)
	v_mul_f32_e32 v4, v2, v4
	v_bfe_u32 v17, v4, 16, 1
	v_cmp_o_f32_e32 vcc_lo, v4, v4
	s_delay_alu instid0(VALU_DEP_2) | instskip(NEXT) | instid1(VALU_DEP_1)
	v_add3_u32 v17, v4, v17, 0x7fff
	v_and_b32_e32 v5, 0xffff0000, v17
	s_delay_alu instid0(VALU_DEP_1) | instskip(SKIP_2) | instid1(VALU_DEP_2)
	v_cndmask_b32_e32 v4, 0x7fc00000, v5, vcc_lo
	v_and_b32_e32 v7, 0xffff0000, v7
	v_mul_f32_e32 v5, v12, v13
	v_dual_mul_f32 v4, v4, v6 :: v_dual_mul_f32 v7, v10, v7
	s_delay_alu instid0(VALU_DEP_2) | instskip(SKIP_2) | instid1(VALU_DEP_4)
	v_bfe_u32 v6, v5, 16, 1
	v_bfe_u32 v10, v11, 16, 1
	v_cmp_o_f32_e32 vcc_lo, v5, v5
	v_bfe_u32 v13, v4, 16, 1
	v_bfe_u32 v12, v7, 16, 1
	v_cmp_o_f32_e64 s0, v7, v7
	v_add3_u32 v6, v5, v6, 0x7fff
	v_add3_u32 v10, v11, v10, 0x7fff
	;; [unrolled: 1-line block ×4, first 2 shown]
	s_delay_alu instid0(VALU_DEP_4) | instskip(NEXT) | instid1(VALU_DEP_4)
	v_lshrrev_b32_e32 v6, 16, v6
	v_and_b32_e32 v10, 0xffff0000, v10
	s_delay_alu instid0(VALU_DEP_4) | instskip(NEXT) | instid1(VALU_DEP_4)
	v_lshrrev_b32_e32 v5, 16, v13
	v_and_b32_e32 v12, 0xffff0000, v12
	s_delay_alu instid0(VALU_DEP_4) | instskip(SKIP_1) | instid1(VALU_DEP_3)
	v_cndmask_b32_e32 v6, 0x7fc0, v6, vcc_lo
	v_add_co_u32 v3, vcc_lo, v3, s8
	v_cndmask_b32_e64 v7, 0x7fc00000, v12, s0
	v_cmp_o_f32_e64 s0, v4, v4
	v_add_co_ci_u32_e32 v1, vcc_lo, 0, v1, vcc_lo
	s_delay_alu instid0(VALU_DEP_2) | instskip(SKIP_1) | instid1(VALU_DEP_2)
	v_cndmask_b32_e64 v4, 0x7fc0, v5, s0
	v_cmp_o_f32_e64 s0, v11, v11
	v_or_b32_e32 v7, v7, v4
	s_delay_alu instid0(VALU_DEP_2) | instskip(SKIP_1) | instid1(VALU_DEP_2)
	v_cndmask_b32_e64 v5, 0x7fc00000, v10, s0
	v_cmp_le_i32_e64 s0, s6, v0
	v_or3_b32 v4, 0, v5, v6
	s_delay_alu instid0(VALU_DEP_4) | instskip(NEXT) | instid1(VALU_DEP_3)
	v_or3_b32 v5, v7, 0, 0
	s_or_b32 s5, s0, s5
	global_store_b64 v[8:9], v[4:5], off
	s_and_not1_b32 exec_lo, exec_lo, s5
	s_cbranch_execnz .LBB12_28
.LBB12_29:
	s_nop 0
	s_sendmsg sendmsg(MSG_DEALLOC_VGPRS)
	s_endpgm
	.section	.rodata,"a",@progbits
	.p2align	6, 0x0
	.amdhsa_kernel _ZN4vllm15rms_norm_kernelIN3c108BFloat16ELi4ELi2EEEvPT_PKS3_lllllS6_fii
		.amdhsa_group_segment_fixed_size 132
		.amdhsa_private_segment_fixed_size 0
		.amdhsa_kernarg_size 336
		.amdhsa_user_sgpr_count 15
		.amdhsa_user_sgpr_dispatch_ptr 0
		.amdhsa_user_sgpr_queue_ptr 0
		.amdhsa_user_sgpr_kernarg_segment_ptr 1
		.amdhsa_user_sgpr_dispatch_id 0
		.amdhsa_user_sgpr_private_segment_size 0
		.amdhsa_wavefront_size32 1
		.amdhsa_uses_dynamic_stack 0
		.amdhsa_enable_private_segment 0
		.amdhsa_system_sgpr_workgroup_id_x 1
		.amdhsa_system_sgpr_workgroup_id_y 0
		.amdhsa_system_sgpr_workgroup_id_z 0
		.amdhsa_system_sgpr_workgroup_info 0
		.amdhsa_system_vgpr_workitem_id 0
		.amdhsa_next_free_vgpr 18
		.amdhsa_next_free_sgpr 20
		.amdhsa_reserve_vcc 1
		.amdhsa_float_round_mode_32 0
		.amdhsa_float_round_mode_16_64 0
		.amdhsa_float_denorm_mode_32 3
		.amdhsa_float_denorm_mode_16_64 3
		.amdhsa_dx10_clamp 1
		.amdhsa_ieee_mode 1
		.amdhsa_fp16_overflow 0
		.amdhsa_workgroup_processor_mode 1
		.amdhsa_memory_ordered 1
		.amdhsa_forward_progress 0
		.amdhsa_shared_vgpr_count 0
		.amdhsa_exception_fp_ieee_invalid_op 0
		.amdhsa_exception_fp_denorm_src 0
		.amdhsa_exception_fp_ieee_div_zero 0
		.amdhsa_exception_fp_ieee_overflow 0
		.amdhsa_exception_fp_ieee_underflow 0
		.amdhsa_exception_fp_ieee_inexact 0
		.amdhsa_exception_int_div_zero 0
	.end_amdhsa_kernel
	.section	.text._ZN4vllm15rms_norm_kernelIN3c108BFloat16ELi4ELi2EEEvPT_PKS3_lllllS6_fii,"axG",@progbits,_ZN4vllm15rms_norm_kernelIN3c108BFloat16ELi4ELi2EEEvPT_PKS3_lllllS6_fii,comdat
.Lfunc_end12:
	.size	_ZN4vllm15rms_norm_kernelIN3c108BFloat16ELi4ELi2EEEvPT_PKS3_lllllS6_fii, .Lfunc_end12-_ZN4vllm15rms_norm_kernelIN3c108BFloat16ELi4ELi2EEEvPT_PKS3_lllllS6_fii
                                        ; -- End function
	.section	.AMDGPU.csdata,"",@progbits
; Kernel info:
; codeLenInByte = 2404
; NumSgprs: 22
; NumVgprs: 18
; ScratchSize: 0
; MemoryBound: 0
; FloatMode: 240
; IeeeMode: 1
; LDSByteSize: 132 bytes/workgroup (compile time only)
; SGPRBlocks: 2
; VGPRBlocks: 2
; NumSGPRsForWavesPerEU: 22
; NumVGPRsForWavesPerEU: 18
; Occupancy: 16
; WaveLimiterHint : 0
; COMPUTE_PGM_RSRC2:SCRATCH_EN: 0
; COMPUTE_PGM_RSRC2:USER_SGPR: 15
; COMPUTE_PGM_RSRC2:TRAP_HANDLER: 0
; COMPUTE_PGM_RSRC2:TGID_X_EN: 1
; COMPUTE_PGM_RSRC2:TGID_Y_EN: 0
; COMPUTE_PGM_RSRC2:TGID_Z_EN: 0
; COMPUTE_PGM_RSRC2:TIDIG_COMP_CNT: 0
	.section	.text._ZN4vllm15rms_norm_kernelIN3c108BFloat16ELi2ELi2EEEvPT_PKS3_lllllS6_fii,"axG",@progbits,_ZN4vllm15rms_norm_kernelIN3c108BFloat16ELi2ELi2EEEvPT_PKS3_lllllS6_fii,comdat
	.protected	_ZN4vllm15rms_norm_kernelIN3c108BFloat16ELi2ELi2EEEvPT_PKS3_lllllS6_fii ; -- Begin function _ZN4vllm15rms_norm_kernelIN3c108BFloat16ELi2ELi2EEEvPT_PKS3_lllllS6_fii
	.globl	_ZN4vllm15rms_norm_kernelIN3c108BFloat16ELi2ELi2EEEvPT_PKS3_lllllS6_fii
	.p2align	8
	.type	_ZN4vllm15rms_norm_kernelIN3c108BFloat16ELi2ELi2EEEvPT_PKS3_lllllS6_fii,@function
_ZN4vllm15rms_norm_kernelIN3c108BFloat16ELi2ELi2EEEvPT_PKS3_lllllS6_fii: ; @_ZN4vllm15rms_norm_kernelIN3c108BFloat16ELi2ELi2EEEvPT_PKS3_lllllS6_fii
; %bb.0:
	s_clause 0x2
	s_load_b128 s[4:7], s[0:1], 0x8
	s_load_b32 s10, s[0:1], 0x5c
	s_load_b32 s13, s[0:1], 0x48
	s_waitcnt lgkmcnt(0)
	s_mul_i32 s3, s15, s7
	s_mul_hi_u32 s7, s15, s6
	s_mul_i32 s2, s15, s6
	s_add_i32 s3, s7, s3
	s_delay_alu instid0(SALU_CYCLE_1)
	s_lshl_b64 s[8:9], s[2:3], 1
	s_mov_b32 s3, 0
	s_add_u32 s6, s4, s8
	s_addc_u32 s7, s5, s9
	s_and_b32 s2, s6, 3
	s_and_b32 s12, s10, 0xffff
	s_cmp_lg_u64 s[2:3], 0
	s_cselect_b32 s2, -1, 0
	s_bitcmp1_b32 s13, 0
	s_cselect_b32 s3, -1, 0
	s_delay_alu instid0(SALU_CYCLE_1) | instskip(NEXT) | instid1(SALU_CYCLE_1)
	s_or_b32 s2, s2, s3
	s_and_b32 vcc_lo, exec_lo, s2
	s_cbranch_vccz .LBB13_13
; %bb.1:
	s_sub_i32 s2, 0, s6
	v_mov_b32_e32 v4, 0
	s_bfe_u32 s2, s2, 0x10001
	s_mov_b32 s11, exec_lo
	s_min_i32 s10, s2, s13
	s_delay_alu instid0(SALU_CYCLE_1)
	v_cmpx_gt_i32_e64 s10, v0
	s_cbranch_execz .LBB13_4
; %bb.2:
	v_dual_mov_b32 v1, 0 :: v_dual_mov_b32 v4, 0
	s_lshl_b32 s14, s12, 1
	s_mov_b32 s16, 0
	s_mov_b64 s[2:3], s[6:7]
.LBB13_3:                               ; =>This Inner Loop Header: Depth=1
	global_load_u16 v2, v1, s[2:3]
	s_add_i32 s16, s16, s12
	s_add_u32 s2, s2, s14
	s_addc_u32 s3, s3, 0
	s_cmp_ge_i32 s16, s10
	s_waitcnt vmcnt(0)
	v_lshlrev_b32_e32 v2, 16, v2
	s_delay_alu instid0(VALU_DEP_1)
	v_fmac_f32_e32 v4, v2, v2
	s_cbranch_scc0 .LBB13_3
.LBB13_4:
	s_or_b32 exec_lo, exec_lo, s11
	s_sub_i32 s3, s13, s10
	s_ashr_i32 s11, s10, 31
	s_lshr_b32 s2, s3, 31
	s_mov_b32 s16, exec_lo
	s_add_i32 s2, s3, s2
	s_delay_alu instid0(SALU_CYCLE_1) | instskip(NEXT) | instid1(SALU_CYCLE_1)
	s_ashr_i32 s14, s2, 1
	v_cmpx_gt_i32_e64 s14, v0
	s_cbranch_execz .LBB13_8
; %bb.5:
	s_lshl_b64 s[18:19], s[10:11], 1
	v_lshlrev_b32_e32 v1, 2, v0
	s_add_u32 s2, s4, s18
	s_addc_u32 s17, s5, s19
	s_add_u32 s2, s2, s8
	s_addc_u32 s17, s17, s9
	v_add_co_u32 v1, s2, s2, v1
	s_delay_alu instid0(VALU_DEP_1)
	v_add_co_ci_u32_e64 v2, null, s17, 0, s2
	v_mov_b32_e32 v3, v0
	s_mov_b32 s17, 0
	s_lshl_b32 s18, s12, 2
.LBB13_6:                               ; =>This Inner Loop Header: Depth=1
	global_load_b32 v5, v[1:2], off
	v_add_co_u32 v1, vcc_lo, v1, s18
	v_add_co_ci_u32_e32 v2, vcc_lo, 0, v2, vcc_lo
	s_waitcnt vmcnt(0)
	v_lshlrev_b32_e32 v6, 16, v5
	v_add_nc_u32_e32 v3, s12, v3
	s_delay_alu instid0(VALU_DEP_2) | instskip(NEXT) | instid1(VALU_DEP_2)
	v_dual_fmac_f32 v4, v6, v6 :: v_dual_and_b32 v5, 0xffff0000, v5
	v_cmp_le_i32_e64 s2, s14, v3
	s_delay_alu instid0(VALU_DEP_2) | instskip(NEXT) | instid1(VALU_DEP_2)
	v_fmac_f32_e32 v4, v5, v5
	s_or_b32 s17, s2, s17
	s_delay_alu instid0(SALU_CYCLE_1)
	s_and_not1_b32 exec_lo, exec_lo, s17
	s_cbranch_execnz .LBB13_6
; %bb.7:
	s_or_b32 exec_lo, exec_lo, s17
.LBB13_8:
	s_delay_alu instid0(SALU_CYCLE_1) | instskip(SKIP_2) | instid1(VALU_DEP_1)
	s_or_b32 exec_lo, exec_lo, s16
	v_lshl_add_u32 v1, s14, 1, v0
	s_mov_b32 s14, exec_lo
	v_cmpx_gt_i32_e64 s3, v1
	s_cbranch_execz .LBB13_12
; %bb.9:
	v_ashrrev_i32_e32 v2, 31, v1
	s_lshl_b64 s[10:11], s[10:11], 1
	s_delay_alu instid0(SALU_CYCLE_1) | instskip(SKIP_1) | instid1(VALU_DEP_1)
	s_add_u32 s2, s8, s10
	s_addc_u32 s10, s9, s11
	v_lshlrev_b64 v[2:3], 1, v[1:2]
	s_add_u32 s2, s4, s2
	s_addc_u32 s10, s5, s10
	s_lshl_b32 s11, s12, 1
	s_delay_alu instid0(VALU_DEP_1) | instskip(NEXT) | instid1(VALU_DEP_2)
	v_add_co_u32 v2, vcc_lo, s2, v2
	v_add_co_ci_u32_e32 v3, vcc_lo, s10, v3, vcc_lo
	s_mov_b32 s10, 0
.LBB13_10:                              ; =>This Inner Loop Header: Depth=1
	global_load_u16 v5, v[2:3], off
	v_add_nc_u32_e32 v1, s12, v1
	v_add_co_u32 v2, vcc_lo, v2, s11
	v_add_co_ci_u32_e32 v3, vcc_lo, 0, v3, vcc_lo
	s_delay_alu instid0(VALU_DEP_3) | instskip(NEXT) | instid1(VALU_DEP_1)
	v_cmp_le_i32_e64 s2, s3, v1
	s_or_b32 s10, s2, s10
	s_waitcnt vmcnt(0)
	v_lshlrev_b32_e32 v5, 16, v5
	s_delay_alu instid0(VALU_DEP_1)
	v_fmac_f32_e32 v4, v5, v5
	s_and_not1_b32 exec_lo, exec_lo, s10
	s_cbranch_execnz .LBB13_10
; %bb.11:
	s_or_b32 exec_lo, exec_lo, s10
.LBB13_12:
	s_delay_alu instid0(SALU_CYCLE_1)
	s_or_b32 exec_lo, exec_lo, s14
	s_branch .LBB13_19
.LBB13_13:
                                        ; implicit-def: $vgpr4
	s_cbranch_execz .LBB13_19
; %bb.14:
	v_mov_b32_e32 v4, 0
	s_ashr_i32 s10, s13, 1
	s_mov_b32 s3, exec_lo
	v_cmpx_gt_i32_e64 s10, v0
	s_cbranch_execz .LBB13_18
; %bb.15:
	v_dual_mov_b32 v4, 0 :: v_dual_lshlrev_b32 v1, 2, v0
	s_add_u32 s2, s4, s8
	s_addc_u32 s4, s5, s9
	v_mov_b32_e32 v3, v0
	s_delay_alu instid0(VALU_DEP_2) | instskip(NEXT) | instid1(VALU_DEP_1)
	v_add_co_u32 v1, s2, s2, v1
	v_add_co_ci_u32_e64 v2, null, s4, 0, s2
	s_mov_b32 s4, 0
	s_lshl_b32 s5, s12, 2
.LBB13_16:                              ; =>This Inner Loop Header: Depth=1
	global_load_b32 v5, v[1:2], off
	v_add_co_u32 v1, vcc_lo, v1, s5
	v_add_co_ci_u32_e32 v2, vcc_lo, 0, v2, vcc_lo
	s_waitcnt vmcnt(0)
	v_lshlrev_b32_e32 v6, 16, v5
	v_add_nc_u32_e32 v3, s12, v3
	s_delay_alu instid0(VALU_DEP_2) | instskip(NEXT) | instid1(VALU_DEP_2)
	v_dual_fmac_f32 v4, v6, v6 :: v_dual_and_b32 v5, 0xffff0000, v5
	v_cmp_le_i32_e64 s2, s10, v3
	s_delay_alu instid0(VALU_DEP_2) | instskip(NEXT) | instid1(VALU_DEP_2)
	v_fmac_f32_e32 v4, v5, v5
	s_or_b32 s4, s2, s4
	s_delay_alu instid0(SALU_CYCLE_1)
	s_and_not1_b32 exec_lo, exec_lo, s4
	s_cbranch_execnz .LBB13_16
; %bb.17:
	s_or_b32 exec_lo, exec_lo, s4
.LBB13_18:
	s_delay_alu instid0(SALU_CYCLE_1)
	s_or_b32 exec_lo, exec_lo, s3
.LBB13_19:
	v_mbcnt_lo_u32_b32 v1, -1, 0
	v_and_b32_e32 v3, 0x3e0, v0
	s_mov_b32 s2, exec_lo
	s_delay_alu instid0(VALU_DEP_2) | instskip(NEXT) | instid1(VALU_DEP_2)
	v_cmp_ne_u32_e32 vcc_lo, 31, v1
	v_sub_nc_u32_e64 v12, s12, v3 clamp
	v_add_nc_u32_e32 v3, 1, v1
	v_add_co_ci_u32_e32 v2, vcc_lo, 0, v1, vcc_lo
	v_cmp_gt_u32_e32 vcc_lo, 30, v1
	s_delay_alu instid0(VALU_DEP_2)
	v_lshlrev_b32_e32 v2, 2, v2
	v_cndmask_b32_e64 v6, 0, 1, vcc_lo
	v_cmp_lt_u32_e32 vcc_lo, v3, v12
	ds_bpermute_b32 v5, v2, v4
	s_waitcnt lgkmcnt(0)
	v_dual_add_f32 v7, v4, v5 :: v_dual_lshlrev_b32 v6, 1, v6
	s_delay_alu instid0(VALU_DEP_1) | instskip(NEXT) | instid1(VALU_DEP_2)
	v_cndmask_b32_e32 v7, v4, v7, vcc_lo
	v_add_lshl_u32 v5, v6, v1, 2
	v_cmp_gt_u32_e32 vcc_lo, 28, v1
	ds_bpermute_b32 v6, v5, v7
	v_cndmask_b32_e64 v4, 0, 1, vcc_lo
	s_delay_alu instid0(VALU_DEP_1) | instskip(SKIP_1) | instid1(VALU_DEP_1)
	v_lshlrev_b32_e32 v8, 2, v4
	v_add_nc_u32_e32 v4, 2, v1
	v_cmp_lt_u32_e32 vcc_lo, v4, v12
	s_waitcnt lgkmcnt(0)
	v_add_f32_e32 v9, v7, v6
	v_add_lshl_u32 v6, v8, v1, 2
	s_delay_alu instid0(VALU_DEP_2) | instskip(SKIP_2) | instid1(VALU_DEP_1)
	v_cndmask_b32_e32 v9, v7, v9, vcc_lo
	v_cmp_gt_u32_e32 vcc_lo, 24, v1
	v_cndmask_b32_e64 v7, 0, 1, vcc_lo
	v_lshlrev_b32_e32 v10, 3, v7
	ds_bpermute_b32 v8, v6, v9
	v_add_nc_u32_e32 v7, 4, v1
	s_delay_alu instid0(VALU_DEP_1) | instskip(SKIP_3) | instid1(VALU_DEP_2)
	v_cmp_lt_u32_e32 vcc_lo, v7, v12
	s_waitcnt lgkmcnt(0)
	v_add_f32_e32 v11, v9, v8
	v_add_lshl_u32 v8, v10, v1, 2
	v_cndmask_b32_e32 v11, v9, v11, vcc_lo
	v_cmp_gt_u32_e32 vcc_lo, 16, v1
	ds_bpermute_b32 v10, v8, v11
	v_cndmask_b32_e64 v9, 0, 1, vcc_lo
	s_delay_alu instid0(VALU_DEP_1) | instskip(SKIP_1) | instid1(VALU_DEP_1)
	v_lshlrev_b32_e32 v13, 4, v9
	v_add_nc_u32_e32 v9, 8, v1
	v_cmp_lt_u32_e32 vcc_lo, v9, v12
	s_waitcnt lgkmcnt(0)
	v_add_f32_e32 v14, v11, v10
	v_add_lshl_u32 v10, v13, v1, 2
	s_delay_alu instid0(VALU_DEP_2)
	v_cndmask_b32_e32 v13, v11, v14, vcc_lo
	v_add_nc_u32_e32 v11, 16, v1
	ds_bpermute_b32 v14, v10, v13
	v_cmp_lt_u32_e32 vcc_lo, v11, v12
	s_waitcnt lgkmcnt(0)
	v_add_f32_e32 v14, v13, v14
	s_delay_alu instid0(VALU_DEP_1)
	v_cndmask_b32_e32 v12, v13, v14, vcc_lo
	v_cmpx_eq_u32_e32 0, v1
	s_cbranch_execz .LBB13_21
; %bb.20:
	v_lshrrev_b32_e32 v13, 3, v0
	s_delay_alu instid0(VALU_DEP_1)
	v_and_b32_e32 v13, 0x7c, v13
	ds_store_b32 v13, v12
.LBB13_21:
	s_or_b32 exec_lo, exec_lo, s2
	s_delay_alu instid0(SALU_CYCLE_1)
	s_mov_b32 s2, exec_lo
	s_waitcnt lgkmcnt(0)
	s_barrier
	buffer_gl0_inv
	v_cmpx_gt_u32_e32 32, v0
	s_cbranch_execz .LBB13_23
; %bb.22:
	v_lshlrev_b32_e32 v1, 2, v1
	s_add_i32 s3, s12, 31
	s_delay_alu instid0(SALU_CYCLE_1) | instskip(NEXT) | instid1(SALU_CYCLE_1)
	s_lshr_b32 s3, s3, 5
	v_cmp_gt_u32_e32 vcc_lo, s3, v3
	ds_load_b32 v1, v1
	s_waitcnt lgkmcnt(0)
	ds_bpermute_b32 v2, v2, v1
	s_waitcnt lgkmcnt(0)
	v_add_f32_e32 v2, v1, v2
	s_delay_alu instid0(VALU_DEP_1) | instskip(SKIP_4) | instid1(VALU_DEP_1)
	v_cndmask_b32_e32 v1, v1, v2, vcc_lo
	v_cmp_gt_u32_e32 vcc_lo, s3, v4
	ds_bpermute_b32 v2, v5, v1
	s_waitcnt lgkmcnt(0)
	v_add_f32_e32 v2, v1, v2
	v_cndmask_b32_e32 v1, v1, v2, vcc_lo
	v_cmp_gt_u32_e32 vcc_lo, s3, v7
	ds_bpermute_b32 v2, v6, v1
	s_waitcnt lgkmcnt(0)
	v_add_f32_e32 v2, v1, v2
	s_delay_alu instid0(VALU_DEP_1) | instskip(SKIP_4) | instid1(VALU_DEP_1)
	v_cndmask_b32_e32 v1, v1, v2, vcc_lo
	v_cmp_gt_u32_e32 vcc_lo, s3, v9
	ds_bpermute_b32 v2, v8, v1
	s_waitcnt lgkmcnt(0)
	v_add_f32_e32 v2, v1, v2
	v_cndmask_b32_e32 v1, v1, v2, vcc_lo
	v_cmp_gt_u32_e32 vcc_lo, s3, v11
	ds_bpermute_b32 v2, v10, v1
	s_waitcnt lgkmcnt(0)
	v_add_f32_e32 v2, v1, v2
	s_delay_alu instid0(VALU_DEP_1)
	v_cndmask_b32_e32 v12, v1, v2, vcc_lo
.LBB13_23:
	s_or_b32 exec_lo, exec_lo, s2
	s_delay_alu instid0(SALU_CYCLE_1)
	s_mov_b32 s2, exec_lo
	v_cmpx_eq_u32_e32 0, v0
	s_cbranch_execz .LBB13_25
; %bb.24:
	v_cvt_f32_i32_e32 v1, s13
	s_load_b32 s3, s[0:1], 0x40
	s_delay_alu instid0(VALU_DEP_1) | instskip(SKIP_1) | instid1(VALU_DEP_2)
	v_div_scale_f32 v2, null, v1, v1, v12
	v_div_scale_f32 v5, vcc_lo, v12, v1, v12
	v_rcp_f32_e32 v3, v2
	s_waitcnt_depctr 0xfff
	v_fma_f32 v4, -v2, v3, 1.0
	s_delay_alu instid0(VALU_DEP_1) | instskip(NEXT) | instid1(VALU_DEP_1)
	v_fmac_f32_e32 v3, v4, v3
	v_mul_f32_e32 v4, v5, v3
	s_delay_alu instid0(VALU_DEP_1) | instskip(NEXT) | instid1(VALU_DEP_1)
	v_fma_f32 v6, -v2, v4, v5
	v_fmac_f32_e32 v4, v6, v3
	s_delay_alu instid0(VALU_DEP_1) | instskip(NEXT) | instid1(VALU_DEP_1)
	v_fma_f32 v2, -v2, v4, v5
	v_div_fmas_f32 v2, v2, v3, v4
	s_delay_alu instid0(VALU_DEP_1) | instskip(SKIP_1) | instid1(VALU_DEP_1)
	v_div_fixup_f32 v1, v2, v1, v12
	s_waitcnt lgkmcnt(0)
	v_add_f32_e32 v1, s3, v1
	s_delay_alu instid0(VALU_DEP_1) | instskip(SKIP_1) | instid1(VALU_DEP_2)
	v_mul_f32_e32 v2, 0x4b800000, v1
	v_cmp_gt_f32_e32 vcc_lo, 0x800000, v1
	v_cndmask_b32_e32 v1, v1, v2, vcc_lo
	s_delay_alu instid0(VALU_DEP_1) | instskip(SKIP_2) | instid1(VALU_DEP_1)
	v_rsq_f32_e32 v1, v1
	s_waitcnt_depctr 0xfff
	v_mul_f32_e32 v2, 0x45800000, v1
	v_dual_cndmask_b32 v1, v1, v2 :: v_dual_mov_b32 v2, 0
	ds_store_b32 v2, v1 offset:128
.LBB13_25:
	s_or_b32 exec_lo, exec_lo, s2
	s_lshr_b32 s2, s13, 31
	s_waitcnt lgkmcnt(0)
	s_add_i32 s2, s13, s2
	s_barrier
	s_ashr_i32 s4, s2, 1
	buffer_gl0_inv
	s_mov_b32 s2, exec_lo
	v_cmpx_gt_i32_e64 s4, v0
	s_cbranch_execz .LBB13_28
; %bb.26:
	v_mov_b32_e32 v1, 0
	s_clause 0x1
	s_load_b64 s[8:9], s[0:1], 0x0
	s_load_b64 s[2:3], s[0:1], 0x38
	s_mul_i32 s0, s15, s13
	s_mov_b32 s1, 0
	v_lshlrev_b32_e32 v3, 2, v0
	ds_load_b32 v2, v1 offset:128
	s_lshl_b64 s[10:11], s[0:1], 1
	s_waitcnt lgkmcnt(0)
	s_add_u32 s5, s8, s10
	s_addc_u32 s8, s9, s11
	s_lshl_b32 s9, s12, 2
.LBB13_27:                              ; =>This Inner Loop Header: Depth=1
	v_add_co_u32 v4, vcc_lo, s6, v3
	v_add_co_ci_u32_e32 v5, vcc_lo, s7, v1, vcc_lo
	v_add_nc_u32_e32 v0, s12, v0
	global_load_b32 v6, v[4:5], off
	v_add_co_u32 v4, vcc_lo, s2, v3
	v_add_co_ci_u32_e32 v5, vcc_lo, s3, v1, vcc_lo
	global_load_b32 v4, v[4:5], off
	s_waitcnt vmcnt(0)
	v_and_b32_e32 v9, 0xffff0000, v4
	v_lshlrev_b32_e32 v4, 16, v4
	v_and_b32_e32 v5, 0xffff0000, v6
	v_lshlrev_b32_e32 v6, 16, v6
	s_delay_alu instid0(VALU_DEP_1) | instskip(NEXT) | instid1(VALU_DEP_1)
	v_mul_f32_e32 v6, v2, v6
	v_bfe_u32 v8, v6, 16, 1
	v_cmp_o_f32_e32 vcc_lo, v6, v6
	s_delay_alu instid0(VALU_DEP_2) | instskip(NEXT) | instid1(VALU_DEP_1)
	v_add3_u32 v8, v6, v8, 0x7fff
	v_and_b32_e32 v8, 0xffff0000, v8
	s_delay_alu instid0(VALU_DEP_1) | instskip(NEXT) | instid1(VALU_DEP_1)
	v_cndmask_b32_e32 v6, 0x7fc00000, v8, vcc_lo
	v_mul_f32_e32 v6, v6, v4
	v_mul_f32_e32 v5, v2, v5
	v_add_co_u32 v4, vcc_lo, s5, v3
	s_delay_alu instid0(VALU_DEP_3) | instskip(NEXT) | instid1(VALU_DEP_3)
	v_bfe_u32 v8, v6, 16, 1
	v_bfe_u32 v7, v5, 16, 1
	v_cmp_o_f32_e64 s0, v5, v5
	s_delay_alu instid0(VALU_DEP_3) | instskip(NEXT) | instid1(VALU_DEP_3)
	v_add3_u32 v8, v6, v8, 0x7fff
	v_add3_u32 v7, v5, v7, 0x7fff
	s_delay_alu instid0(VALU_DEP_2) | instskip(NEXT) | instid1(VALU_DEP_2)
	v_lshrrev_b32_e32 v8, 16, v8
	v_and_b32_e32 v7, 0xffff0000, v7
	s_delay_alu instid0(VALU_DEP_1) | instskip(NEXT) | instid1(VALU_DEP_1)
	v_cndmask_b32_e64 v5, 0x7fc00000, v7, s0
	v_mul_f32_e32 v7, v5, v9
	s_delay_alu instid0(VALU_DEP_1) | instskip(SKIP_1) | instid1(VALU_DEP_2)
	v_bfe_u32 v5, v7, 16, 1
	v_cmp_o_f32_e64 s0, v7, v7
	v_add3_u32 v9, v7, v5, 0x7fff
	v_add_co_ci_u32_e32 v5, vcc_lo, s8, v1, vcc_lo
	v_cmp_o_f32_e32 vcc_lo, v6, v6
	s_delay_alu instid0(VALU_DEP_3) | instskip(SKIP_2) | instid1(VALU_DEP_3)
	v_and_b32_e32 v9, 0xffff0000, v9
	v_cndmask_b32_e32 v7, 0x7fc0, v8, vcc_lo
	v_add_co_u32 v3, vcc_lo, v3, s9
	v_cndmask_b32_e64 v6, 0x7fc00000, v9, s0
	v_cmp_le_i32_e64 s0, s4, v0
	v_add_co_ci_u32_e32 v1, vcc_lo, 0, v1, vcc_lo
	s_delay_alu instid0(VALU_DEP_3) | instskip(NEXT) | instid1(VALU_DEP_3)
	v_or_b32_e32 v6, v6, v7
	s_or_b32 s1, s0, s1
	global_store_b32 v[4:5], v6, off
	s_and_not1_b32 exec_lo, exec_lo, s1
	s_cbranch_execnz .LBB13_27
.LBB13_28:
	s_nop 0
	s_sendmsg sendmsg(MSG_DEALLOC_VGPRS)
	s_endpgm
	.section	.rodata,"a",@progbits
	.p2align	6, 0x0
	.amdhsa_kernel _ZN4vllm15rms_norm_kernelIN3c108BFloat16ELi2ELi2EEEvPT_PKS3_lllllS6_fii
		.amdhsa_group_segment_fixed_size 132
		.amdhsa_private_segment_fixed_size 0
		.amdhsa_kernarg_size 336
		.amdhsa_user_sgpr_count 15
		.amdhsa_user_sgpr_dispatch_ptr 0
		.amdhsa_user_sgpr_queue_ptr 0
		.amdhsa_user_sgpr_kernarg_segment_ptr 1
		.amdhsa_user_sgpr_dispatch_id 0
		.amdhsa_user_sgpr_private_segment_size 0
		.amdhsa_wavefront_size32 1
		.amdhsa_uses_dynamic_stack 0
		.amdhsa_enable_private_segment 0
		.amdhsa_system_sgpr_workgroup_id_x 1
		.amdhsa_system_sgpr_workgroup_id_y 0
		.amdhsa_system_sgpr_workgroup_id_z 0
		.amdhsa_system_sgpr_workgroup_info 0
		.amdhsa_system_vgpr_workitem_id 0
		.amdhsa_next_free_vgpr 15
		.amdhsa_next_free_sgpr 20
		.amdhsa_reserve_vcc 1
		.amdhsa_float_round_mode_32 0
		.amdhsa_float_round_mode_16_64 0
		.amdhsa_float_denorm_mode_32 3
		.amdhsa_float_denorm_mode_16_64 3
		.amdhsa_dx10_clamp 1
		.amdhsa_ieee_mode 1
		.amdhsa_fp16_overflow 0
		.amdhsa_workgroup_processor_mode 1
		.amdhsa_memory_ordered 1
		.amdhsa_forward_progress 0
		.amdhsa_shared_vgpr_count 0
		.amdhsa_exception_fp_ieee_invalid_op 0
		.amdhsa_exception_fp_denorm_src 0
		.amdhsa_exception_fp_ieee_div_zero 0
		.amdhsa_exception_fp_ieee_overflow 0
		.amdhsa_exception_fp_ieee_underflow 0
		.amdhsa_exception_fp_ieee_inexact 0
		.amdhsa_exception_int_div_zero 0
	.end_amdhsa_kernel
	.section	.text._ZN4vllm15rms_norm_kernelIN3c108BFloat16ELi2ELi2EEEvPT_PKS3_lllllS6_fii,"axG",@progbits,_ZN4vllm15rms_norm_kernelIN3c108BFloat16ELi2ELi2EEEvPT_PKS3_lllllS6_fii,comdat
.Lfunc_end13:
	.size	_ZN4vllm15rms_norm_kernelIN3c108BFloat16ELi2ELi2EEEvPT_PKS3_lllllS6_fii, .Lfunc_end13-_ZN4vllm15rms_norm_kernelIN3c108BFloat16ELi2ELi2EEEvPT_PKS3_lllllS6_fii
                                        ; -- End function
	.section	.AMDGPU.csdata,"",@progbits
; Kernel info:
; codeLenInByte = 1956
; NumSgprs: 22
; NumVgprs: 15
; ScratchSize: 0
; MemoryBound: 0
; FloatMode: 240
; IeeeMode: 1
; LDSByteSize: 132 bytes/workgroup (compile time only)
; SGPRBlocks: 2
; VGPRBlocks: 1
; NumSGPRsForWavesPerEU: 22
; NumVGPRsForWavesPerEU: 15
; Occupancy: 16
; WaveLimiterHint : 0
; COMPUTE_PGM_RSRC2:SCRATCH_EN: 0
; COMPUTE_PGM_RSRC2:USER_SGPR: 15
; COMPUTE_PGM_RSRC2:TRAP_HANDLER: 0
; COMPUTE_PGM_RSRC2:TGID_X_EN: 1
; COMPUTE_PGM_RSRC2:TGID_Y_EN: 0
; COMPUTE_PGM_RSRC2:TGID_Z_EN: 0
; COMPUTE_PGM_RSRC2:TIDIG_COMP_CNT: 0
	.section	.text._ZN4vllm15rms_norm_kernelIN3c108BFloat16ELi1ELi2EEEvPT_PKS3_lllllS6_fii,"axG",@progbits,_ZN4vllm15rms_norm_kernelIN3c108BFloat16ELi1ELi2EEEvPT_PKS3_lllllS6_fii,comdat
	.protected	_ZN4vllm15rms_norm_kernelIN3c108BFloat16ELi1ELi2EEEvPT_PKS3_lllllS6_fii ; -- Begin function _ZN4vllm15rms_norm_kernelIN3c108BFloat16ELi1ELi2EEEvPT_PKS3_lllllS6_fii
	.globl	_ZN4vllm15rms_norm_kernelIN3c108BFloat16ELi1ELi2EEEvPT_PKS3_lllllS6_fii
	.p2align	8
	.type	_ZN4vllm15rms_norm_kernelIN3c108BFloat16ELi1ELi2EEEvPT_PKS3_lllllS6_fii,@function
_ZN4vllm15rms_norm_kernelIN3c108BFloat16ELi1ELi2EEEvPT_PKS3_lllllS6_fii: ; @_ZN4vllm15rms_norm_kernelIN3c108BFloat16ELi1ELi2EEEvPT_PKS3_lllllS6_fii
; %bb.0:
	s_clause 0x2
	s_load_b128 s[4:7], s[0:1], 0x8
	s_load_b32 s11, s[0:1], 0x5c
	s_load_b32 s8, s[0:1], 0x48
	s_waitcnt lgkmcnt(0)
	s_mul_i32 s3, s15, s7
	s_mul_hi_u32 s7, s15, s6
	s_mul_i32 s2, s15, s6
	s_add_i32 s3, s7, s3
	s_delay_alu instid0(SALU_CYCLE_1) | instskip(NEXT) | instid1(SALU_CYCLE_1)
	s_lshl_b64 s[6:7], s[2:3], 1
	s_add_u32 s9, s4, s6
	s_addc_u32 s10, s5, s7
	s_and_b32 s11, s11, 0xffff
	s_bitcmp1_b32 s9, 0
	s_cselect_b32 s2, -1, 0
	s_delay_alu instid0(SALU_CYCLE_1)
	s_and_b32 vcc_lo, exec_lo, s2
	s_cbranch_vccz .LBB14_6
; %bb.1:
	v_mov_b32_e32 v3, 0
	s_min_i32 s2, s8, 0
	s_mov_b32 s12, 0
	s_sub_i32 s14, s8, s2
	s_mov_b32 s13, exec_lo
	v_cmpx_gt_i32_e64 s14, v0
	s_cbranch_execz .LBB14_5
; %bb.2:
	s_ashr_i32 s3, s2, 31
	v_dual_mov_b32 v4, v0 :: v_dual_lshlrev_b32 v1, 1, v0
	s_lshl_b64 s[2:3], s[2:3], 1
	v_mov_b32_e32 v3, 0
	s_add_u32 s2, s6, s2
	s_addc_u32 s3, s7, s3
	s_add_u32 s2, s4, s2
	s_addc_u32 s3, s5, s3
	v_add_co_u32 v1, s2, s2, v1
	s_delay_alu instid0(VALU_DEP_1)
	v_add_co_ci_u32_e64 v2, null, s3, 0, s2
	s_mov_b32 s3, 0
	s_lshl_b32 s16, s11, 1
.LBB14_3:                               ; =>This Inner Loop Header: Depth=1
	global_load_u16 v5, v[1:2], off
	v_add_co_u32 v1, vcc_lo, v1, s16
	v_add_co_ci_u32_e32 v2, vcc_lo, 0, v2, vcc_lo
	s_waitcnt vmcnt(0)
	v_lshlrev_b32_e32 v5, 16, v5
	s_delay_alu instid0(VALU_DEP_1) | instskip(NEXT) | instid1(VALU_DEP_1)
	v_dual_fmac_f32 v3, v5, v5 :: v_dual_add_nc_u32 v4, s11, v4
	v_cmp_le_i32_e64 s2, s14, v4
	s_delay_alu instid0(VALU_DEP_1) | instskip(NEXT) | instid1(SALU_CYCLE_1)
	s_or_b32 s3, s2, s3
	s_and_not1_b32 exec_lo, exec_lo, s3
	s_cbranch_execnz .LBB14_3
; %bb.4:
	s_or_b32 exec_lo, exec_lo, s3
.LBB14_5:
	s_delay_alu instid0(SALU_CYCLE_1)
	s_or_b32 exec_lo, exec_lo, s13
	v_cmp_gt_i32_e64 s2, s8, v0
	s_and_not1_b32 vcc_lo, exec_lo, s12
	s_cbranch_vccz .LBB14_7
	s_branch .LBB14_12
.LBB14_6:
                                        ; implicit-def: $vgpr3
	v_cmp_gt_i32_e64 s2, s8, v0
.LBB14_7:
	v_mov_b32_e32 v3, 0
	s_delay_alu instid0(VALU_DEP_2)
	s_and_saveexec_b32 s3, s2
	s_cbranch_execz .LBB14_11
; %bb.8:
	v_dual_mov_b32 v4, v0 :: v_dual_lshlrev_b32 v1, 1, v0
	s_add_u32 s2, s4, s6
	s_addc_u32 s4, s5, s7
	v_mov_b32_e32 v3, 0
	s_delay_alu instid0(VALU_DEP_2) | instskip(NEXT) | instid1(VALU_DEP_1)
	v_add_co_u32 v1, s2, s2, v1
	v_add_co_ci_u32_e64 v2, null, s4, 0, s2
	s_mov_b32 s4, 0
	s_lshl_b32 s5, s11, 1
.LBB14_9:                               ; =>This Inner Loop Header: Depth=1
	global_load_u16 v5, v[1:2], off
	v_add_co_u32 v1, vcc_lo, v1, s5
	v_add_co_ci_u32_e32 v2, vcc_lo, 0, v2, vcc_lo
	s_waitcnt vmcnt(0)
	v_lshlrev_b32_e32 v5, 16, v5
	s_delay_alu instid0(VALU_DEP_1) | instskip(NEXT) | instid1(VALU_DEP_1)
	v_dual_fmac_f32 v3, v5, v5 :: v_dual_add_nc_u32 v4, s11, v4
	v_cmp_le_i32_e64 s2, s8, v4
	s_delay_alu instid0(VALU_DEP_1) | instskip(NEXT) | instid1(SALU_CYCLE_1)
	s_or_b32 s4, s2, s4
	s_and_not1_b32 exec_lo, exec_lo, s4
	s_cbranch_execnz .LBB14_9
; %bb.10:
	s_or_b32 exec_lo, exec_lo, s4
.LBB14_11:
	s_delay_alu instid0(SALU_CYCLE_1)
	s_or_b32 exec_lo, exec_lo, s3
.LBB14_12:
	v_mbcnt_lo_u32_b32 v1, -1, 0
	s_mov_b32 s2, exec_lo
	s_delay_alu instid0(VALU_DEP_1) | instskip(SKIP_2) | instid1(VALU_DEP_2)
	v_cmp_ne_u32_e32 vcc_lo, 31, v1
	v_add_co_ci_u32_e32 v2, vcc_lo, 0, v1, vcc_lo
	v_cmp_gt_u32_e32 vcc_lo, 30, v1
	v_lshlrev_b32_e32 v2, 2, v2
	v_cndmask_b32_e64 v6, 0, 1, vcc_lo
	ds_bpermute_b32 v5, v2, v3
	s_waitcnt lgkmcnt(0)
	v_dual_add_f32 v7, v3, v5 :: v_dual_and_b32 v4, 0x3e0, v0
	s_delay_alu instid0(VALU_DEP_1) | instskip(SKIP_1) | instid1(VALU_DEP_1)
	v_sub_nc_u32_e64 v12, s11, v4 clamp
	v_add_nc_u32_e32 v4, 1, v1
	v_cmp_lt_u32_e32 vcc_lo, v4, v12
	s_delay_alu instid0(VALU_DEP_4) | instskip(SKIP_2) | instid1(VALU_DEP_1)
	v_cndmask_b32_e32 v7, v3, v7, vcc_lo
	v_cmp_gt_u32_e32 vcc_lo, 28, v1
	v_cndmask_b32_e64 v3, 0, 1, vcc_lo
	v_lshlrev_b32_e32 v8, 2, v3
	v_add_nc_u32_e32 v3, 2, v1
	s_delay_alu instid0(VALU_DEP_1) | instskip(SKIP_1) | instid1(VALU_DEP_1)
	v_cmp_lt_u32_e32 vcc_lo, v3, v12
	v_lshlrev_b32_e32 v6, 1, v6
	v_add_lshl_u32 v5, v6, v1, 2
	ds_bpermute_b32 v6, v5, v7
	s_waitcnt lgkmcnt(0)
	v_add_f32_e32 v9, v7, v6
	v_add_lshl_u32 v6, v8, v1, 2
	s_delay_alu instid0(VALU_DEP_2) | instskip(SKIP_3) | instid1(VALU_DEP_1)
	v_cndmask_b32_e32 v9, v7, v9, vcc_lo
	v_cmp_gt_u32_e32 vcc_lo, 24, v1
	ds_bpermute_b32 v8, v6, v9
	v_cndmask_b32_e64 v7, 0, 1, vcc_lo
	v_lshlrev_b32_e32 v10, 3, v7
	v_add_nc_u32_e32 v7, 4, v1
	s_delay_alu instid0(VALU_DEP_1) | instskip(SKIP_3) | instid1(VALU_DEP_2)
	v_cmp_lt_u32_e32 vcc_lo, v7, v12
	s_waitcnt lgkmcnt(0)
	v_add_f32_e32 v11, v9, v8
	v_add_lshl_u32 v8, v10, v1, 2
	v_cndmask_b32_e32 v11, v9, v11, vcc_lo
	v_cmp_gt_u32_e32 vcc_lo, 16, v1
	ds_bpermute_b32 v10, v8, v11
	v_cndmask_b32_e64 v9, 0, 1, vcc_lo
	s_delay_alu instid0(VALU_DEP_1) | instskip(SKIP_1) | instid1(VALU_DEP_1)
	v_lshlrev_b32_e32 v13, 4, v9
	v_add_nc_u32_e32 v9, 8, v1
	v_cmp_lt_u32_e32 vcc_lo, v9, v12
	s_waitcnt lgkmcnt(0)
	v_add_f32_e32 v14, v11, v10
	v_add_lshl_u32 v10, v13, v1, 2
	s_delay_alu instid0(VALU_DEP_2)
	v_cndmask_b32_e32 v13, v11, v14, vcc_lo
	v_add_nc_u32_e32 v11, 16, v1
	ds_bpermute_b32 v14, v10, v13
	v_cmp_lt_u32_e32 vcc_lo, v11, v12
	s_waitcnt lgkmcnt(0)
	v_add_f32_e32 v14, v13, v14
	s_delay_alu instid0(VALU_DEP_1)
	v_cndmask_b32_e32 v12, v13, v14, vcc_lo
	v_cmpx_eq_u32_e32 0, v1
	s_cbranch_execz .LBB14_14
; %bb.13:
	v_lshrrev_b32_e32 v13, 3, v0
	s_delay_alu instid0(VALU_DEP_1)
	v_and_b32_e32 v13, 0x7c, v13
	ds_store_b32 v13, v12
.LBB14_14:
	s_or_b32 exec_lo, exec_lo, s2
	s_delay_alu instid0(SALU_CYCLE_1)
	s_mov_b32 s2, exec_lo
	s_waitcnt lgkmcnt(0)
	s_barrier
	buffer_gl0_inv
	v_cmpx_gt_u32_e32 32, v0
	s_cbranch_execz .LBB14_16
; %bb.15:
	v_lshlrev_b32_e32 v1, 2, v1
	s_add_i32 s3, s11, 31
	s_delay_alu instid0(SALU_CYCLE_1) | instskip(NEXT) | instid1(SALU_CYCLE_1)
	s_lshr_b32 s3, s3, 5
	v_cmp_gt_u32_e32 vcc_lo, s3, v4
	ds_load_b32 v1, v1
	s_waitcnt lgkmcnt(0)
	ds_bpermute_b32 v2, v2, v1
	s_waitcnt lgkmcnt(0)
	v_add_f32_e32 v2, v1, v2
	s_delay_alu instid0(VALU_DEP_1) | instskip(SKIP_4) | instid1(VALU_DEP_1)
	v_cndmask_b32_e32 v1, v1, v2, vcc_lo
	v_cmp_gt_u32_e32 vcc_lo, s3, v3
	ds_bpermute_b32 v2, v5, v1
	s_waitcnt lgkmcnt(0)
	v_add_f32_e32 v2, v1, v2
	v_cndmask_b32_e32 v1, v1, v2, vcc_lo
	v_cmp_gt_u32_e32 vcc_lo, s3, v7
	ds_bpermute_b32 v2, v6, v1
	s_waitcnt lgkmcnt(0)
	v_add_f32_e32 v2, v1, v2
	s_delay_alu instid0(VALU_DEP_1) | instskip(SKIP_4) | instid1(VALU_DEP_1)
	v_cndmask_b32_e32 v1, v1, v2, vcc_lo
	v_cmp_gt_u32_e32 vcc_lo, s3, v9
	ds_bpermute_b32 v2, v8, v1
	s_waitcnt lgkmcnt(0)
	v_add_f32_e32 v2, v1, v2
	v_cndmask_b32_e32 v1, v1, v2, vcc_lo
	v_cmp_gt_u32_e32 vcc_lo, s3, v11
	ds_bpermute_b32 v2, v10, v1
	s_waitcnt lgkmcnt(0)
	v_add_f32_e32 v2, v1, v2
	s_delay_alu instid0(VALU_DEP_1)
	v_cndmask_b32_e32 v12, v1, v2, vcc_lo
.LBB14_16:
	s_or_b32 exec_lo, exec_lo, s2
	s_delay_alu instid0(SALU_CYCLE_1)
	s_mov_b32 s2, exec_lo
	v_cmpx_eq_u32_e32 0, v0
	s_cbranch_execz .LBB14_18
; %bb.17:
	v_cvt_f32_i32_e32 v1, s8
	s_load_b32 s3, s[0:1], 0x40
	s_delay_alu instid0(VALU_DEP_1) | instskip(SKIP_1) | instid1(VALU_DEP_2)
	v_div_scale_f32 v2, null, v1, v1, v12
	v_div_scale_f32 v5, vcc_lo, v12, v1, v12
	v_rcp_f32_e32 v3, v2
	s_waitcnt_depctr 0xfff
	v_fma_f32 v4, -v2, v3, 1.0
	s_delay_alu instid0(VALU_DEP_1) | instskip(NEXT) | instid1(VALU_DEP_1)
	v_fmac_f32_e32 v3, v4, v3
	v_mul_f32_e32 v4, v5, v3
	s_delay_alu instid0(VALU_DEP_1) | instskip(NEXT) | instid1(VALU_DEP_1)
	v_fma_f32 v6, -v2, v4, v5
	v_fmac_f32_e32 v4, v6, v3
	s_delay_alu instid0(VALU_DEP_1) | instskip(NEXT) | instid1(VALU_DEP_1)
	v_fma_f32 v2, -v2, v4, v5
	v_div_fmas_f32 v2, v2, v3, v4
	s_delay_alu instid0(VALU_DEP_1) | instskip(SKIP_1) | instid1(VALU_DEP_1)
	v_div_fixup_f32 v1, v2, v1, v12
	s_waitcnt lgkmcnt(0)
	v_add_f32_e32 v1, s3, v1
	s_delay_alu instid0(VALU_DEP_1) | instskip(SKIP_1) | instid1(VALU_DEP_2)
	v_mul_f32_e32 v2, 0x4b800000, v1
	v_cmp_gt_f32_e32 vcc_lo, 0x800000, v1
	v_cndmask_b32_e32 v1, v1, v2, vcc_lo
	s_delay_alu instid0(VALU_DEP_1) | instskip(SKIP_2) | instid1(VALU_DEP_1)
	v_rsq_f32_e32 v1, v1
	s_waitcnt_depctr 0xfff
	v_mul_f32_e32 v2, 0x45800000, v1
	v_dual_cndmask_b32 v1, v1, v2 :: v_dual_mov_b32 v2, 0
	ds_store_b32 v2, v1 offset:128
.LBB14_18:
	s_or_b32 exec_lo, exec_lo, s2
	s_waitcnt lgkmcnt(0)
	s_barrier
	buffer_gl0_inv
	s_mov_b32 s2, exec_lo
	v_cmpx_gt_i32_e64 s8, v0
	s_cbranch_execz .LBB14_21
; %bb.19:
	v_mov_b32_e32 v1, 0
	s_clause 0x1
	s_load_b64 s[4:5], s[0:1], 0x0
	s_load_b64 s[2:3], s[0:1], 0x38
	s_mul_i32 s0, s15, s8
	s_mov_b32 s1, 0
	s_delay_alu instid0(SALU_CYCLE_1)
	s_lshl_b64 s[6:7], s[0:1], 1
	ds_load_b32 v2, v1 offset:128
	s_waitcnt lgkmcnt(0)
	s_add_u32 s4, s4, s6
	s_addc_u32 s5, s5, s7
.LBB14_20:                              ; =>This Inner Loop Header: Depth=1
	v_ashrrev_i32_e32 v1, 31, v0
	s_delay_alu instid0(VALU_DEP_1) | instskip(SKIP_1) | instid1(VALU_DEP_2)
	v_lshlrev_b64 v[3:4], 1, v[0:1]
	v_add_nc_u32_e32 v0, s11, v0
	v_add_co_u32 v5, vcc_lo, s9, v3
	s_delay_alu instid0(VALU_DEP_3)
	v_add_co_ci_u32_e32 v6, vcc_lo, s10, v4, vcc_lo
	global_load_u16 v1, v[5:6], off
	v_add_co_u32 v5, vcc_lo, s2, v3
	v_add_co_ci_u32_e32 v6, vcc_lo, s3, v4, vcc_lo
	global_load_u16 v5, v[5:6], off
	s_waitcnt vmcnt(1)
	v_lshlrev_b32_e32 v1, 16, v1
	s_delay_alu instid0(VALU_DEP_1) | instskip(SKIP_2) | instid1(VALU_DEP_2)
	v_mul_f32_e32 v1, v2, v1
	s_waitcnt vmcnt(0)
	v_lshlrev_b32_e32 v5, 16, v5
	v_bfe_u32 v6, v1, 16, 1
	s_delay_alu instid0(VALU_DEP_1) | instskip(NEXT) | instid1(VALU_DEP_1)
	v_add3_u32 v6, v1, v6, 0x7fff
	v_and_b32_e32 v6, 0xffff0000, v6
	v_cmp_o_f32_e32 vcc_lo, v1, v1
	s_delay_alu instid0(VALU_DEP_2) | instskip(SKIP_1) | instid1(VALU_DEP_2)
	v_cndmask_b32_e32 v1, 0x7fc00000, v6, vcc_lo
	v_cmp_le_i32_e32 vcc_lo, s8, v0
	v_mul_f32_e32 v1, v1, v5
	s_or_b32 s1, vcc_lo, s1
	s_delay_alu instid0(VALU_DEP_1) | instskip(SKIP_1) | instid1(VALU_DEP_2)
	v_bfe_u32 v5, v1, 16, 1
	v_cmp_o_f32_e64 s0, v1, v1
	v_add3_u32 v5, v1, v5, 0x7fff
	s_delay_alu instid0(VALU_DEP_1) | instskip(NEXT) | instid1(VALU_DEP_1)
	v_lshrrev_b32_e32 v5, 16, v5
	v_cndmask_b32_e64 v1, 0x7fc0, v5, s0
	v_add_co_u32 v3, s0, s4, v3
	s_delay_alu instid0(VALU_DEP_1)
	v_add_co_ci_u32_e64 v4, s0, s5, v4, s0
	global_store_b16 v[3:4], v1, off
	s_and_not1_b32 exec_lo, exec_lo, s1
	s_cbranch_execnz .LBB14_20
.LBB14_21:
	s_nop 0
	s_sendmsg sendmsg(MSG_DEALLOC_VGPRS)
	s_endpgm
	.section	.rodata,"a",@progbits
	.p2align	6, 0x0
	.amdhsa_kernel _ZN4vllm15rms_norm_kernelIN3c108BFloat16ELi1ELi2EEEvPT_PKS3_lllllS6_fii
		.amdhsa_group_segment_fixed_size 132
		.amdhsa_private_segment_fixed_size 0
		.amdhsa_kernarg_size 336
		.amdhsa_user_sgpr_count 15
		.amdhsa_user_sgpr_dispatch_ptr 0
		.amdhsa_user_sgpr_queue_ptr 0
		.amdhsa_user_sgpr_kernarg_segment_ptr 1
		.amdhsa_user_sgpr_dispatch_id 0
		.amdhsa_user_sgpr_private_segment_size 0
		.amdhsa_wavefront_size32 1
		.amdhsa_uses_dynamic_stack 0
		.amdhsa_enable_private_segment 0
		.amdhsa_system_sgpr_workgroup_id_x 1
		.amdhsa_system_sgpr_workgroup_id_y 0
		.amdhsa_system_sgpr_workgroup_id_z 0
		.amdhsa_system_sgpr_workgroup_info 0
		.amdhsa_system_vgpr_workitem_id 0
		.amdhsa_next_free_vgpr 15
		.amdhsa_next_free_sgpr 17
		.amdhsa_reserve_vcc 1
		.amdhsa_float_round_mode_32 0
		.amdhsa_float_round_mode_16_64 0
		.amdhsa_float_denorm_mode_32 3
		.amdhsa_float_denorm_mode_16_64 3
		.amdhsa_dx10_clamp 1
		.amdhsa_ieee_mode 1
		.amdhsa_fp16_overflow 0
		.amdhsa_workgroup_processor_mode 1
		.amdhsa_memory_ordered 1
		.amdhsa_forward_progress 0
		.amdhsa_shared_vgpr_count 0
		.amdhsa_exception_fp_ieee_invalid_op 0
		.amdhsa_exception_fp_denorm_src 0
		.amdhsa_exception_fp_ieee_div_zero 0
		.amdhsa_exception_fp_ieee_overflow 0
		.amdhsa_exception_fp_ieee_underflow 0
		.amdhsa_exception_fp_ieee_inexact 0
		.amdhsa_exception_int_div_zero 0
	.end_amdhsa_kernel
	.section	.text._ZN4vllm15rms_norm_kernelIN3c108BFloat16ELi1ELi2EEEvPT_PKS3_lllllS6_fii,"axG",@progbits,_ZN4vllm15rms_norm_kernelIN3c108BFloat16ELi1ELi2EEEvPT_PKS3_lllllS6_fii,comdat
.Lfunc_end14:
	.size	_ZN4vllm15rms_norm_kernelIN3c108BFloat16ELi1ELi2EEEvPT_PKS3_lllllS6_fii, .Lfunc_end14-_ZN4vllm15rms_norm_kernelIN3c108BFloat16ELi1ELi2EEEvPT_PKS3_lllllS6_fii
                                        ; -- End function
	.section	.AMDGPU.csdata,"",@progbits
; Kernel info:
; codeLenInByte = 1512
; NumSgprs: 19
; NumVgprs: 15
; ScratchSize: 0
; MemoryBound: 0
; FloatMode: 240
; IeeeMode: 1
; LDSByteSize: 132 bytes/workgroup (compile time only)
; SGPRBlocks: 2
; VGPRBlocks: 1
; NumSGPRsForWavesPerEU: 19
; NumVGPRsForWavesPerEU: 15
; Occupancy: 16
; WaveLimiterHint : 0
; COMPUTE_PGM_RSRC2:SCRATCH_EN: 0
; COMPUTE_PGM_RSRC2:USER_SGPR: 15
; COMPUTE_PGM_RSRC2:TRAP_HANDLER: 0
; COMPUTE_PGM_RSRC2:TGID_X_EN: 1
; COMPUTE_PGM_RSRC2:TGID_Y_EN: 0
; COMPUTE_PGM_RSRC2:TGID_Z_EN: 0
; COMPUTE_PGM_RSRC2:TIDIG_COMP_CNT: 0
	.section	.text._ZN4vllm15rms_norm_kernelIfLi16ELi3EEEvPT_PKS1_lllllS4_fii,"axG",@progbits,_ZN4vllm15rms_norm_kernelIfLi16ELi3EEEvPT_PKS1_lllllS4_fii,comdat
	.protected	_ZN4vllm15rms_norm_kernelIfLi16ELi3EEEvPT_PKS1_lllllS4_fii ; -- Begin function _ZN4vllm15rms_norm_kernelIfLi16ELi3EEEvPT_PKS1_lllllS4_fii
	.globl	_ZN4vllm15rms_norm_kernelIfLi16ELi3EEEvPT_PKS1_lllllS4_fii
	.p2align	8
	.type	_ZN4vllm15rms_norm_kernelIfLi16ELi3EEEvPT_PKS1_lllllS4_fii,@function
_ZN4vllm15rms_norm_kernelIfLi16ELi3EEEvPT_PKS1_lllllS4_fii: ; @_ZN4vllm15rms_norm_kernelIfLi16ELi3EEEvPT_PKS1_lllllS4_fii
; %bb.0:
	s_clause 0x1
	s_load_b64 s[2:3], s[0:1], 0x28
	s_load_b64 s[4:5], s[0:1], 0x8
	s_mov_b32 s6, 0
	s_waitcnt lgkmcnt(0)
	s_mov_b32 s7, s3
	s_delay_alu instid0(SALU_CYCLE_1)
	s_cmp_lg_u64 s[6:7], 0
	s_cbranch_scc0 .LBB15_33
; %bb.1:
	s_ashr_i32 s8, s3, 31
	s_delay_alu instid0(SALU_CYCLE_1) | instskip(SKIP_2) | instid1(SALU_CYCLE_1)
	s_add_u32 s10, s2, s8
	s_mov_b32 s9, s8
	s_addc_u32 s11, s3, s8
	s_xor_b64 s[10:11], s[10:11], s[8:9]
	s_delay_alu instid0(SALU_CYCLE_1) | instskip(SKIP_3) | instid1(VALU_DEP_1)
	v_cvt_f32_u32_e32 v1, s10
	v_cvt_f32_u32_e32 v2, s11
	s_sub_u32 s12, 0, s10
	s_subb_u32 s13, 0, s11
	v_fmamk_f32 v1, v2, 0x4f800000, v1
	s_delay_alu instid0(VALU_DEP_1) | instskip(SKIP_2) | instid1(VALU_DEP_1)
	v_rcp_f32_e32 v1, v1
	s_waitcnt_depctr 0xfff
	v_mul_f32_e32 v1, 0x5f7ffffc, v1
	v_mul_f32_e32 v2, 0x2f800000, v1
	s_delay_alu instid0(VALU_DEP_1) | instskip(NEXT) | instid1(VALU_DEP_1)
	v_trunc_f32_e32 v2, v2
	v_fmamk_f32 v1, v2, 0xcf800000, v1
	v_cvt_u32_f32_e32 v2, v2
	s_delay_alu instid0(VALU_DEP_2) | instskip(NEXT) | instid1(VALU_DEP_2)
	v_cvt_u32_f32_e32 v1, v1
	v_readfirstlane_b32 s3, v2
	s_delay_alu instid0(VALU_DEP_2) | instskip(NEXT) | instid1(VALU_DEP_2)
	v_readfirstlane_b32 s7, v1
	s_mul_i32 s14, s12, s3
	s_delay_alu instid0(VALU_DEP_1)
	s_mul_hi_u32 s17, s12, s7
	s_mul_i32 s16, s13, s7
	s_add_i32 s14, s17, s14
	s_mul_i32 s18, s12, s7
	s_add_i32 s14, s14, s16
	s_mul_hi_u32 s17, s7, s18
	s_mul_hi_u32 s19, s3, s18
	s_mul_i32 s16, s3, s18
	s_mul_hi_u32 s18, s7, s14
	s_mul_i32 s7, s7, s14
	s_mul_hi_u32 s20, s3, s14
	s_add_u32 s7, s17, s7
	s_addc_u32 s17, 0, s18
	s_add_u32 s7, s7, s16
	s_mul_i32 s14, s3, s14
	s_addc_u32 s7, s17, s19
	s_addc_u32 s16, s20, 0
	s_add_u32 s7, s7, s14
	s_addc_u32 s14, 0, s16
	v_add_co_u32 v1, s7, v1, s7
	s_delay_alu instid0(VALU_DEP_1) | instskip(SKIP_1) | instid1(VALU_DEP_1)
	s_cmp_lg_u32 s7, 0
	s_addc_u32 s3, s3, s14
	v_readfirstlane_b32 s7, v1
	s_mul_i32 s14, s12, s3
	s_delay_alu instid0(VALU_DEP_1)
	s_mul_hi_u32 s16, s12, s7
	s_mul_i32 s13, s13, s7
	s_add_i32 s14, s16, s14
	s_mul_i32 s12, s12, s7
	s_add_i32 s14, s14, s13
	s_mul_hi_u32 s16, s3, s12
	s_mul_i32 s17, s3, s12
	s_mul_hi_u32 s12, s7, s12
	s_mul_hi_u32 s18, s7, s14
	s_mul_i32 s7, s7, s14
	s_mul_hi_u32 s13, s3, s14
	s_add_u32 s7, s12, s7
	s_addc_u32 s12, 0, s18
	s_add_u32 s7, s7, s17
	s_mul_i32 s14, s3, s14
	s_addc_u32 s7, s12, s16
	s_addc_u32 s12, s13, 0
	s_add_u32 s7, s7, s14
	s_addc_u32 s12, 0, s12
	v_add_co_u32 v1, s7, v1, s7
	s_delay_alu instid0(VALU_DEP_1) | instskip(SKIP_1) | instid1(VALU_DEP_1)
	s_cmp_lg_u32 s7, 0
	s_addc_u32 s3, s3, s12
	v_readfirstlane_b32 s7, v1
	s_mul_i32 s12, s15, s3
	s_mul_hi_u32 s3, s15, s3
	s_delay_alu instid0(VALU_DEP_1) | instskip(NEXT) | instid1(SALU_CYCLE_1)
	s_mul_hi_u32 s7, s15, s7
	s_add_u32 s7, s7, s12
	s_addc_u32 s3, 0, s3
	s_add_u32 s7, s7, 0
	s_addc_u32 s3, s3, 0
	s_addc_u32 s7, 0, 0
	s_add_u32 s3, s3, 0
	s_addc_u32 s7, 0, s7
	s_mul_hi_u32 s12, s10, s3
	s_mul_i32 s14, s10, s7
	s_mul_i32 s16, s10, s3
	s_add_i32 s12, s12, s14
	v_sub_co_u32 v1, s14, s15, s16
	s_mul_i32 s13, s11, s3
	s_delay_alu instid0(SALU_CYCLE_1) | instskip(NEXT) | instid1(VALU_DEP_1)
	s_add_i32 s12, s12, s13
	v_sub_co_u32 v2, s16, v1, s10
	s_sub_i32 s13, 0, s12
	s_cmp_lg_u32 s14, 0
	s_subb_u32 s13, s13, s11
	s_cmp_lg_u32 s16, 0
	v_readfirstlane_b32 s16, v2
	s_subb_u32 s13, s13, 0
	s_delay_alu instid0(SALU_CYCLE_1) | instskip(SKIP_1) | instid1(VALU_DEP_1)
	s_cmp_ge_u32 s13, s11
	s_cselect_b32 s17, -1, 0
	s_cmp_ge_u32 s16, s10
	s_cselect_b32 s16, -1, 0
	s_cmp_eq_u32 s13, s11
	s_cselect_b32 s13, s16, s17
	s_add_u32 s16, s3, 1
	s_addc_u32 s17, s7, 0
	s_add_u32 s18, s3, 2
	s_addc_u32 s19, s7, 0
	s_cmp_lg_u32 s13, 0
	s_cselect_b32 s13, s18, s16
	s_cselect_b32 s16, s19, s17
	s_cmp_lg_u32 s14, 0
	v_readfirstlane_b32 s14, v1
	s_subb_u32 s12, 0, s12
	s_delay_alu instid0(SALU_CYCLE_1) | instskip(SKIP_1) | instid1(VALU_DEP_1)
	s_cmp_ge_u32 s12, s11
	s_cselect_b32 s17, -1, 0
	s_cmp_ge_u32 s14, s10
	s_cselect_b32 s10, -1, 0
	s_cmp_eq_u32 s12, s11
	s_cselect_b32 s10, s10, s17
	s_delay_alu instid0(SALU_CYCLE_1) | instskip(SKIP_2) | instid1(SALU_CYCLE_1)
	s_cmp_lg_u32 s10, 0
	s_cselect_b32 s11, s16, s7
	s_cselect_b32 s10, s13, s3
	s_xor_b64 s[10:11], s[10:11], s[8:9]
	s_delay_alu instid0(SALU_CYCLE_1)
	s_sub_u32 s10, s10, s8
	s_subb_u32 s11, s11, s8
	s_and_not1_b32 vcc_lo, exec_lo, s6
	s_cbranch_vccnz .LBB15_3
.LBB15_2:
	v_cvt_f32_u32_e32 v1, s2
	s_sub_i32 s6, 0, s2
	s_mov_b32 s11, 0
	s_delay_alu instid0(VALU_DEP_1) | instskip(SKIP_2) | instid1(VALU_DEP_1)
	v_rcp_iflag_f32_e32 v1, v1
	s_waitcnt_depctr 0xfff
	v_mul_f32_e32 v1, 0x4f7ffffe, v1
	v_cvt_u32_f32_e32 v1, v1
	s_delay_alu instid0(VALU_DEP_1) | instskip(NEXT) | instid1(VALU_DEP_1)
	v_readfirstlane_b32 s3, v1
	s_mul_i32 s6, s6, s3
	s_delay_alu instid0(SALU_CYCLE_1) | instskip(NEXT) | instid1(SALU_CYCLE_1)
	s_mul_hi_u32 s6, s3, s6
	s_add_i32 s3, s3, s6
	s_delay_alu instid0(SALU_CYCLE_1) | instskip(NEXT) | instid1(SALU_CYCLE_1)
	s_mul_hi_u32 s3, s15, s3
	s_mul_i32 s6, s3, s2
	s_add_i32 s7, s3, 1
	s_sub_i32 s6, s15, s6
	s_delay_alu instid0(SALU_CYCLE_1)
	s_sub_i32 s8, s6, s2
	s_cmp_ge_u32 s6, s2
	s_cselect_b32 s3, s7, s3
	s_cselect_b32 s6, s8, s6
	s_add_i32 s7, s3, 1
	s_cmp_ge_u32 s6, s2
	s_cselect_b32 s10, s7, s3
.LBB15_3:
	s_load_b128 s[16:19], s[0:1], 0x10
	s_bfe_i64 s[6:7], s[10:11], 0x200000
	s_clause 0x1
	s_load_b32 s3, s[0:1], 0x48
	s_load_b32 s14, s[0:1], 0x5c
	s_mul_i32 s2, s10, s2
	s_delay_alu instid0(SALU_CYCLE_1)
	s_sub_i32 s2, s15, s2
	s_waitcnt lgkmcnt(0)
	s_mul_i32 s6, s10, s19
	s_mul_hi_u32 s8, s10, s18
	s_mul_i32 s7, s7, s18
	s_add_i32 s8, s8, s6
	s_mul_i32 s6, s10, s18
	s_add_i32 s7, s8, s7
	s_mul_i32 s8, s2, s17
	s_lshl_b64 s[6:7], s[6:7], 2
	s_mul_hi_u32 s9, s2, s16
	s_add_u32 s10, s4, s6
	s_addc_u32 s13, s5, s7
	s_ashr_i32 s11, s2, 31
	s_add_i32 s9, s9, s8
	s_mul_i32 s11, s11, s16
	s_mul_i32 s8, s2, s16
	s_add_i32 s9, s9, s11
	s_mov_b32 s11, 0
	s_lshl_b64 s[8:9], s[8:9], 2
	s_delay_alu instid0(SALU_CYCLE_1)
	s_add_u32 s12, s10, s8
	s_addc_u32 s13, s13, s9
	s_and_b32 s10, s12, 63
	s_and_b32 s14, s14, 0xffff
	s_cmp_lg_u64 s[10:11], 0
	s_cselect_b32 s2, -1, 0
	s_and_b32 s10, s3, 15
	s_delay_alu instid0(SALU_CYCLE_1) | instskip(SKIP_1) | instid1(SALU_CYCLE_1)
	s_cmp_lg_u32 s10, 0
	s_cselect_b32 s10, -1, 0
	s_or_b32 s2, s10, s2
	s_delay_alu instid0(SALU_CYCLE_1)
	s_and_b32 vcc_lo, exec_lo, s2
	s_cbranch_vccz .LBB15_17
; %bb.4:
	s_sub_i32 s2, 0, s12
	v_mov_b32_e32 v4, 0
	s_bfe_u32 s2, s2, 0x40002
	s_mov_b32 s11, exec_lo
	s_min_i32 s10, s2, s3
	s_delay_alu instid0(SALU_CYCLE_1)
	v_cmpx_gt_i32_e64 s10, v0
	s_cbranch_execz .LBB15_8
; %bb.5:
	v_dual_mov_b32 v4, 0 :: v_dual_lshlrev_b32 v1, 2, v0
	s_add_u32 s2, s8, s6
	s_addc_u32 s16, s9, s7
	s_add_u32 s2, s4, s2
	s_addc_u32 s16, s5, s16
	v_add_co_u32 v1, s2, s2, v1
	s_delay_alu instid0(VALU_DEP_1)
	v_add_co_ci_u32_e64 v2, null, s16, 0, s2
	v_mov_b32_e32 v3, v0
	s_mov_b32 s16, 0
	s_lshl_b32 s17, s14, 2
.LBB15_6:                               ; =>This Inner Loop Header: Depth=1
	global_load_b32 v5, v[1:2], off
	v_add_nc_u32_e32 v3, s14, v3
	v_add_co_u32 v1, vcc_lo, v1, s17
	v_add_co_ci_u32_e32 v2, vcc_lo, 0, v2, vcc_lo
	s_waitcnt vmcnt(0)
	v_fmac_f32_e32 v4, v5, v5
	v_cmp_le_i32_e64 s2, s10, v3
	s_delay_alu instid0(VALU_DEP_1) | instskip(NEXT) | instid1(SALU_CYCLE_1)
	s_or_b32 s16, s2, s16
	s_and_not1_b32 exec_lo, exec_lo, s16
	s_cbranch_execnz .LBB15_6
; %bb.7:
	s_or_b32 exec_lo, exec_lo, s16
.LBB15_8:
	s_delay_alu instid0(SALU_CYCLE_1)
	s_or_b32 exec_lo, exec_lo, s11
	s_sub_i32 s16, s3, s10
	s_ashr_i32 s11, s10, 31
	s_ashr_i32 s2, s16, 31
	s_mov_b32 s18, exec_lo
	s_lshr_b32 s2, s2, 28
	s_delay_alu instid0(SALU_CYCLE_1) | instskip(NEXT) | instid1(SALU_CYCLE_1)
	s_add_i32 s2, s16, s2
	s_ashr_i32 s17, s2, 4
	s_delay_alu instid0(SALU_CYCLE_1)
	v_cmpx_gt_i32_e64 s17, v0
	s_cbranch_execz .LBB15_12
; %bb.9:
	s_add_u32 s2, s8, s6
	s_addc_u32 s19, s9, s7
	s_lshl_b64 s[20:21], s[10:11], 2
	v_lshlrev_b32_e32 v1, 6, v0
	s_add_u32 s20, s4, s20
	s_addc_u32 s21, s5, s21
	s_add_u32 s2, s20, s2
	s_addc_u32 s19, s21, s19
	v_add_co_u32 v1, s2, s2, v1
	s_delay_alu instid0(VALU_DEP_1)
	v_add_co_ci_u32_e64 v2, null, s19, 0, s2
	v_mov_b32_e32 v3, v0
	s_mov_b32 s19, 0
	s_lshl_b32 s20, s14, 6
	s_set_inst_prefetch_distance 0x1
	.p2align	6
.LBB15_10:                              ; =>This Inner Loop Header: Depth=1
	s_clause 0x3
	global_load_b128 v[5:8], v[1:2], off
	global_load_b128 v[9:12], v[1:2], off offset:16
	global_load_b128 v[13:16], v[1:2], off offset:32
	;; [unrolled: 1-line block ×3, first 2 shown]
	v_add_co_u32 v1, vcc_lo, v1, s20
	v_add_co_ci_u32_e32 v2, vcc_lo, 0, v2, vcc_lo
	v_add_nc_u32_e32 v3, s14, v3
	s_delay_alu instid0(VALU_DEP_1) | instskip(NEXT) | instid1(VALU_DEP_1)
	v_cmp_le_i32_e64 s2, s17, v3
	s_or_b32 s19, s2, s19
	s_waitcnt vmcnt(3)
	v_fmac_f32_e32 v4, v5, v5
	s_delay_alu instid0(VALU_DEP_1) | instskip(NEXT) | instid1(VALU_DEP_1)
	v_fmac_f32_e32 v4, v6, v6
	v_fmac_f32_e32 v4, v7, v7
	s_delay_alu instid0(VALU_DEP_1) | instskip(SKIP_1) | instid1(VALU_DEP_1)
	v_fmac_f32_e32 v4, v8, v8
	s_waitcnt vmcnt(2)
	v_fmac_f32_e32 v4, v9, v9
	s_delay_alu instid0(VALU_DEP_1) | instskip(NEXT) | instid1(VALU_DEP_1)
	v_fmac_f32_e32 v4, v10, v10
	v_fmac_f32_e32 v4, v11, v11
	s_delay_alu instid0(VALU_DEP_1) | instskip(SKIP_1) | instid1(VALU_DEP_1)
	v_fmac_f32_e32 v4, v12, v12
	;; [unrolled: 7-line block ×3, first 2 shown]
	s_waitcnt vmcnt(0)
	v_fmac_f32_e32 v4, v17, v17
	s_delay_alu instid0(VALU_DEP_1) | instskip(NEXT) | instid1(VALU_DEP_1)
	v_fmac_f32_e32 v4, v18, v18
	v_fmac_f32_e32 v4, v19, v19
	s_delay_alu instid0(VALU_DEP_1)
	v_fmac_f32_e32 v4, v20, v20
	s_and_not1_b32 exec_lo, exec_lo, s19
	s_cbranch_execnz .LBB15_10
; %bb.11:
	s_set_inst_prefetch_distance 0x2
	s_or_b32 exec_lo, exec_lo, s19
.LBB15_12:
	s_delay_alu instid0(SALU_CYCLE_1) | instskip(SKIP_2) | instid1(VALU_DEP_1)
	s_or_b32 exec_lo, exec_lo, s18
	v_lshl_add_u32 v1, s17, 4, v0
	s_mov_b32 s17, exec_lo
	v_cmpx_gt_i32_e64 s16, v1
	s_cbranch_execz .LBB15_16
; %bb.13:
	v_ashrrev_i32_e32 v2, 31, v1
	s_add_u32 s2, s8, s6
	s_addc_u32 s18, s9, s7
	s_lshl_b64 s[10:11], s[10:11], 2
	s_delay_alu instid0(SALU_CYCLE_1)
	s_add_u32 s2, s2, s10
	v_lshlrev_b64 v[2:3], 2, v[1:2]
	s_addc_u32 s10, s18, s11
	s_add_u32 s2, s4, s2
	s_addc_u32 s10, s5, s10
	s_lshl_b32 s11, s14, 2
	s_delay_alu instid0(VALU_DEP_1)
	v_add_co_u32 v2, vcc_lo, s2, v2
	v_add_co_ci_u32_e32 v3, vcc_lo, s10, v3, vcc_lo
	s_mov_b32 s10, 0
.LBB15_14:                              ; =>This Inner Loop Header: Depth=1
	global_load_b32 v5, v[2:3], off
	v_add_nc_u32_e32 v1, s14, v1
	v_add_co_u32 v2, vcc_lo, v2, s11
	v_add_co_ci_u32_e32 v3, vcc_lo, 0, v3, vcc_lo
	s_delay_alu instid0(VALU_DEP_3) | instskip(NEXT) | instid1(VALU_DEP_1)
	v_cmp_le_i32_e64 s2, s16, v1
	s_or_b32 s10, s2, s10
	s_waitcnt vmcnt(0)
	v_fmac_f32_e32 v4, v5, v5
	s_and_not1_b32 exec_lo, exec_lo, s10
	s_cbranch_execnz .LBB15_14
; %bb.15:
	s_or_b32 exec_lo, exec_lo, s10
.LBB15_16:
	s_delay_alu instid0(SALU_CYCLE_1)
	s_or_b32 exec_lo, exec_lo, s17
	s_branch .LBB15_23
.LBB15_17:
                                        ; implicit-def: $vgpr4
	s_cbranch_execz .LBB15_23
; %bb.18:
	v_mov_b32_e32 v4, 0
	s_ashr_i32 s11, s3, 4
	s_mov_b32 s10, exec_lo
	v_cmpx_gt_i32_e64 s11, v0
	s_cbranch_execz .LBB15_22
; %bb.19:
	v_dual_mov_b32 v4, 0 :: v_dual_lshlrev_b32 v1, 6, v0
	s_add_u32 s2, s8, s6
	s_addc_u32 s6, s9, s7
	s_add_u32 s2, s4, s2
	s_addc_u32 s4, s5, s6
	v_add_co_u32 v1, s2, s2, v1
	s_delay_alu instid0(VALU_DEP_1)
	v_add_co_ci_u32_e64 v2, null, s4, 0, s2
	v_mov_b32_e32 v3, v0
	s_mov_b32 s4, 0
	s_lshl_b32 s5, s14, 6
	s_set_inst_prefetch_distance 0x1
	.p2align	6
.LBB15_20:                              ; =>This Inner Loop Header: Depth=1
	s_clause 0x3
	global_load_b128 v[5:8], v[1:2], off
	global_load_b128 v[9:12], v[1:2], off offset:16
	global_load_b128 v[13:16], v[1:2], off offset:32
	;; [unrolled: 1-line block ×3, first 2 shown]
	v_add_co_u32 v1, vcc_lo, v1, s5
	v_add_co_ci_u32_e32 v2, vcc_lo, 0, v2, vcc_lo
	v_add_nc_u32_e32 v3, s14, v3
	s_delay_alu instid0(VALU_DEP_1) | instskip(NEXT) | instid1(VALU_DEP_1)
	v_cmp_le_i32_e64 s2, s11, v3
	s_or_b32 s4, s2, s4
	s_waitcnt vmcnt(3)
	v_fmac_f32_e32 v4, v5, v5
	s_delay_alu instid0(VALU_DEP_1) | instskip(NEXT) | instid1(VALU_DEP_1)
	v_fmac_f32_e32 v4, v6, v6
	v_fmac_f32_e32 v4, v7, v7
	s_delay_alu instid0(VALU_DEP_1) | instskip(SKIP_1) | instid1(VALU_DEP_1)
	v_fmac_f32_e32 v4, v8, v8
	s_waitcnt vmcnt(2)
	v_fmac_f32_e32 v4, v9, v9
	s_delay_alu instid0(VALU_DEP_1) | instskip(NEXT) | instid1(VALU_DEP_1)
	v_fmac_f32_e32 v4, v10, v10
	v_fmac_f32_e32 v4, v11, v11
	s_delay_alu instid0(VALU_DEP_1) | instskip(SKIP_1) | instid1(VALU_DEP_1)
	v_fmac_f32_e32 v4, v12, v12
	;; [unrolled: 7-line block ×3, first 2 shown]
	s_waitcnt vmcnt(0)
	v_fmac_f32_e32 v4, v17, v17
	s_delay_alu instid0(VALU_DEP_1) | instskip(NEXT) | instid1(VALU_DEP_1)
	v_fmac_f32_e32 v4, v18, v18
	v_fmac_f32_e32 v4, v19, v19
	s_delay_alu instid0(VALU_DEP_1)
	v_fmac_f32_e32 v4, v20, v20
	s_and_not1_b32 exec_lo, exec_lo, s4
	s_cbranch_execnz .LBB15_20
; %bb.21:
	s_set_inst_prefetch_distance 0x2
	s_or_b32 exec_lo, exec_lo, s4
.LBB15_22:
	s_delay_alu instid0(SALU_CYCLE_1)
	s_or_b32 exec_lo, exec_lo, s10
.LBB15_23:
	v_mbcnt_lo_u32_b32 v1, -1, 0
	v_and_b32_e32 v3, 0x3e0, v0
	s_mov_b32 s2, exec_lo
	s_delay_alu instid0(VALU_DEP_2) | instskip(NEXT) | instid1(VALU_DEP_2)
	v_cmp_ne_u32_e32 vcc_lo, 31, v1
	v_sub_nc_u32_e64 v12, s14, v3 clamp
	v_add_nc_u32_e32 v3, 1, v1
	v_add_co_ci_u32_e32 v2, vcc_lo, 0, v1, vcc_lo
	v_cmp_gt_u32_e32 vcc_lo, 30, v1
	s_delay_alu instid0(VALU_DEP_2)
	v_lshlrev_b32_e32 v2, 2, v2
	v_cndmask_b32_e64 v6, 0, 1, vcc_lo
	v_cmp_lt_u32_e32 vcc_lo, v3, v12
	ds_bpermute_b32 v5, v2, v4
	s_waitcnt lgkmcnt(0)
	v_dual_add_f32 v7, v4, v5 :: v_dual_lshlrev_b32 v6, 1, v6
	s_delay_alu instid0(VALU_DEP_1) | instskip(NEXT) | instid1(VALU_DEP_2)
	v_cndmask_b32_e32 v7, v4, v7, vcc_lo
	v_add_lshl_u32 v5, v6, v1, 2
	v_cmp_gt_u32_e32 vcc_lo, 28, v1
	ds_bpermute_b32 v6, v5, v7
	v_cndmask_b32_e64 v4, 0, 1, vcc_lo
	s_delay_alu instid0(VALU_DEP_1) | instskip(SKIP_1) | instid1(VALU_DEP_1)
	v_lshlrev_b32_e32 v8, 2, v4
	v_add_nc_u32_e32 v4, 2, v1
	v_cmp_lt_u32_e32 vcc_lo, v4, v12
	s_waitcnt lgkmcnt(0)
	v_add_f32_e32 v9, v7, v6
	v_add_lshl_u32 v6, v8, v1, 2
	s_delay_alu instid0(VALU_DEP_2) | instskip(SKIP_2) | instid1(VALU_DEP_1)
	v_cndmask_b32_e32 v9, v7, v9, vcc_lo
	v_cmp_gt_u32_e32 vcc_lo, 24, v1
	v_cndmask_b32_e64 v7, 0, 1, vcc_lo
	v_lshlrev_b32_e32 v10, 3, v7
	ds_bpermute_b32 v8, v6, v9
	v_add_nc_u32_e32 v7, 4, v1
	s_delay_alu instid0(VALU_DEP_1) | instskip(SKIP_3) | instid1(VALU_DEP_2)
	v_cmp_lt_u32_e32 vcc_lo, v7, v12
	s_waitcnt lgkmcnt(0)
	v_add_f32_e32 v11, v9, v8
	v_add_lshl_u32 v8, v10, v1, 2
	v_cndmask_b32_e32 v11, v9, v11, vcc_lo
	v_cmp_gt_u32_e32 vcc_lo, 16, v1
	ds_bpermute_b32 v10, v8, v11
	v_cndmask_b32_e64 v9, 0, 1, vcc_lo
	s_delay_alu instid0(VALU_DEP_1) | instskip(SKIP_1) | instid1(VALU_DEP_1)
	v_lshlrev_b32_e32 v13, 4, v9
	v_add_nc_u32_e32 v9, 8, v1
	v_cmp_lt_u32_e32 vcc_lo, v9, v12
	s_waitcnt lgkmcnt(0)
	v_add_f32_e32 v14, v11, v10
	v_add_lshl_u32 v10, v13, v1, 2
	s_delay_alu instid0(VALU_DEP_2)
	v_cndmask_b32_e32 v13, v11, v14, vcc_lo
	v_add_nc_u32_e32 v11, 16, v1
	ds_bpermute_b32 v14, v10, v13
	v_cmp_lt_u32_e32 vcc_lo, v11, v12
	s_waitcnt lgkmcnt(0)
	v_add_f32_e32 v14, v13, v14
	s_delay_alu instid0(VALU_DEP_1)
	v_cndmask_b32_e32 v12, v13, v14, vcc_lo
	v_cmpx_eq_u32_e32 0, v1
	s_cbranch_execz .LBB15_25
; %bb.24:
	v_lshrrev_b32_e32 v13, 3, v0
	s_delay_alu instid0(VALU_DEP_1)
	v_and_b32_e32 v13, 0x7c, v13
	ds_store_b32 v13, v12
.LBB15_25:
	s_or_b32 exec_lo, exec_lo, s2
	s_delay_alu instid0(SALU_CYCLE_1)
	s_mov_b32 s2, exec_lo
	s_waitcnt lgkmcnt(0)
	s_barrier
	buffer_gl0_inv
	v_cmpx_gt_u32_e32 32, v0
	s_cbranch_execz .LBB15_27
; %bb.26:
	v_lshlrev_b32_e32 v1, 2, v1
	s_add_i32 s4, s14, 31
	s_delay_alu instid0(SALU_CYCLE_1) | instskip(NEXT) | instid1(SALU_CYCLE_1)
	s_lshr_b32 s4, s4, 5
	v_cmp_gt_u32_e32 vcc_lo, s4, v3
	ds_load_b32 v1, v1
	s_waitcnt lgkmcnt(0)
	ds_bpermute_b32 v2, v2, v1
	s_waitcnt lgkmcnt(0)
	v_add_f32_e32 v2, v1, v2
	s_delay_alu instid0(VALU_DEP_1) | instskip(SKIP_4) | instid1(VALU_DEP_1)
	v_cndmask_b32_e32 v1, v1, v2, vcc_lo
	v_cmp_gt_u32_e32 vcc_lo, s4, v4
	ds_bpermute_b32 v2, v5, v1
	s_waitcnt lgkmcnt(0)
	v_add_f32_e32 v2, v1, v2
	v_cndmask_b32_e32 v1, v1, v2, vcc_lo
	v_cmp_gt_u32_e32 vcc_lo, s4, v7
	ds_bpermute_b32 v2, v6, v1
	s_waitcnt lgkmcnt(0)
	v_add_f32_e32 v2, v1, v2
	s_delay_alu instid0(VALU_DEP_1) | instskip(SKIP_4) | instid1(VALU_DEP_1)
	v_cndmask_b32_e32 v1, v1, v2, vcc_lo
	v_cmp_gt_u32_e32 vcc_lo, s4, v9
	ds_bpermute_b32 v2, v8, v1
	s_waitcnt lgkmcnt(0)
	v_add_f32_e32 v2, v1, v2
	v_cndmask_b32_e32 v1, v1, v2, vcc_lo
	v_cmp_gt_u32_e32 vcc_lo, s4, v11
	ds_bpermute_b32 v2, v10, v1
	s_waitcnt lgkmcnt(0)
	v_add_f32_e32 v2, v1, v2
	s_delay_alu instid0(VALU_DEP_1)
	v_cndmask_b32_e32 v12, v1, v2, vcc_lo
.LBB15_27:
	s_or_b32 exec_lo, exec_lo, s2
	s_delay_alu instid0(SALU_CYCLE_1)
	s_mov_b32 s2, exec_lo
	v_cmpx_eq_u32_e32 0, v0
	s_cbranch_execz .LBB15_29
; %bb.28:
	v_cvt_f32_i32_e32 v1, s3
	s_load_b32 s4, s[0:1], 0x40
	s_delay_alu instid0(VALU_DEP_1) | instskip(SKIP_1) | instid1(VALU_DEP_2)
	v_div_scale_f32 v2, null, v1, v1, v12
	v_div_scale_f32 v5, vcc_lo, v12, v1, v12
	v_rcp_f32_e32 v3, v2
	s_waitcnt_depctr 0xfff
	v_fma_f32 v4, -v2, v3, 1.0
	s_delay_alu instid0(VALU_DEP_1) | instskip(NEXT) | instid1(VALU_DEP_1)
	v_fmac_f32_e32 v3, v4, v3
	v_mul_f32_e32 v4, v5, v3
	s_delay_alu instid0(VALU_DEP_1) | instskip(NEXT) | instid1(VALU_DEP_1)
	v_fma_f32 v6, -v2, v4, v5
	v_fmac_f32_e32 v4, v6, v3
	s_delay_alu instid0(VALU_DEP_1) | instskip(NEXT) | instid1(VALU_DEP_1)
	v_fma_f32 v2, -v2, v4, v5
	v_div_fmas_f32 v2, v2, v3, v4
	s_delay_alu instid0(VALU_DEP_1) | instskip(SKIP_1) | instid1(VALU_DEP_1)
	v_div_fixup_f32 v1, v2, v1, v12
	s_waitcnt lgkmcnt(0)
	v_add_f32_e32 v1, s4, v1
	s_delay_alu instid0(VALU_DEP_1) | instskip(SKIP_1) | instid1(VALU_DEP_2)
	v_mul_f32_e32 v2, 0x4b800000, v1
	v_cmp_gt_f32_e32 vcc_lo, 0x800000, v1
	v_cndmask_b32_e32 v1, v1, v2, vcc_lo
	s_delay_alu instid0(VALU_DEP_1) | instskip(SKIP_2) | instid1(VALU_DEP_1)
	v_rsq_f32_e32 v1, v1
	s_waitcnt_depctr 0xfff
	v_mul_f32_e32 v2, 0x45800000, v1
	v_dual_cndmask_b32 v1, v1, v2 :: v_dual_mov_b32 v2, 0
	ds_store_b32 v2, v1 offset:128
.LBB15_29:
	s_or_b32 exec_lo, exec_lo, s2
	s_ashr_i32 s2, s3, 31
	s_waitcnt lgkmcnt(0)
	s_lshr_b32 s2, s2, 28
	s_barrier
	s_add_i32 s2, s3, s2
	buffer_gl0_inv
	s_ashr_i32 s4, s2, 4
	s_mov_b32 s2, exec_lo
	v_cmpx_gt_i32_e64 s4, v0
	s_cbranch_execz .LBB15_32
; %bb.30:
	v_dual_mov_b32 v1, 0 :: v_dual_lshlrev_b32 v2, 6, v0
	s_clause 0x1
	s_load_b64 s[6:7], s[0:1], 0x0
	s_load_b64 s[0:1], s[0:1], 0x38
	s_mul_i32 s2, s15, s3
	s_mov_b32 s3, 0
	ds_load_b32 v1, v1 offset:128
	s_lshl_b64 s[8:9], s[2:3], 2
	s_waitcnt lgkmcnt(0)
	s_add_u32 s2, s6, s8
	s_addc_u32 s5, s7, s9
	s_lshl_b32 s6, s14, 6
.LBB15_31:                              ; =>This Inner Loop Header: Depth=1
	v_add_co_u32 v15, s7, s12, v2
	s_delay_alu instid0(VALU_DEP_1) | instskip(SKIP_1) | instid1(VALU_DEP_1)
	v_add_co_ci_u32_e64 v16, null, s13, 0, s7
	v_add_co_u32 v31, s7, s0, v2
	v_add_co_ci_u32_e64 v32, null, s1, 0, s7
	s_clause 0x3
	global_load_b128 v[3:6], v[15:16], off
	global_load_b128 v[7:10], v[15:16], off offset:16
	global_load_b128 v[11:14], v[15:16], off offset:32
	;; [unrolled: 1-line block ×3, first 2 shown]
	s_clause 0x3
	global_load_b128 v[19:22], v[31:32], off
	global_load_b128 v[23:26], v[31:32], off offset:16
	global_load_b128 v[27:30], v[31:32], off offset:32
	;; [unrolled: 1-line block ×3, first 2 shown]
	v_add_nc_u32_e32 v0, s14, v0
	v_add_co_u32 v35, s7, s2, v2
	s_add_u32 s2, s2, s6
	v_add_co_ci_u32_e64 v36, null, s5, 0, s7
	s_addc_u32 s5, s5, 0
	s_add_u32 s12, s12, s6
	s_addc_u32 s13, s13, 0
	s_add_u32 s0, s0, s6
	s_addc_u32 s1, s1, 0
	s_waitcnt vmcnt(7)
	v_mul_f32_e32 v3, v3, v1
	v_mul_f32_e32 v4, v4, v1
	s_waitcnt vmcnt(5)
	v_mul_f32_e32 v14, v14, v1
	s_waitcnt vmcnt(4)
	v_mul_f32_e32 v15, v15, v1
	v_mul_f32_e32 v7, v7, v1
	s_waitcnt vmcnt(3)
	v_dual_mul_f32 v6, v6, v1 :: v_dual_mul_f32 v3, v3, v19
	s_waitcnt vmcnt(1)
	v_mul_f32_e32 v14, v14, v30
	s_waitcnt vmcnt(0)
	v_dual_mul_f32 v10, v10, v1 :: v_dual_mul_f32 v15, v15, v31
	v_mul_f32_e32 v11, v11, v1
	v_dual_mul_f32 v5, v5, v1 :: v_dual_mul_f32 v4, v4, v20
	s_delay_alu instid0(VALU_DEP_3) | instskip(NEXT) | instid1(VALU_DEP_3)
	v_mul_f32_e32 v10, v10, v26
	v_dual_mul_f32 v8, v8, v1 :: v_dual_mul_f32 v11, v11, v27
	v_mul_f32_e32 v9, v9, v1
	v_mul_f32_e32 v12, v12, v1
	;; [unrolled: 1-line block ×3, first 2 shown]
	v_cmp_le_i32_e32 vcc_lo, s4, v0
	v_mul_f32_e32 v16, v16, v1
	v_mul_f32_e32 v17, v17, v1
	;; [unrolled: 1-line block ×4, first 2 shown]
	v_dual_mul_f32 v7, v7, v23 :: v_dual_mul_f32 v6, v6, v22
	v_mul_f32_e32 v8, v8, v24
	s_delay_alu instid0(VALU_DEP_4)
	v_dual_mul_f32 v18, v18, v34 :: v_dual_mul_f32 v9, v9, v25
	v_dual_mul_f32 v12, v12, v28 :: v_dual_mul_f32 v13, v13, v29
	;; [unrolled: 1-line block ×3, first 2 shown]
	s_or_b32 s3, vcc_lo, s3
	s_clause 0x3
	global_store_b128 v[35:36], v[3:6], off
	global_store_b128 v[35:36], v[7:10], off offset:16
	global_store_b128 v[35:36], v[11:14], off offset:32
	;; [unrolled: 1-line block ×3, first 2 shown]
	s_and_not1_b32 exec_lo, exec_lo, s3
	s_cbranch_execnz .LBB15_31
.LBB15_32:
	s_nop 0
	s_sendmsg sendmsg(MSG_DEALLOC_VGPRS)
	s_endpgm
.LBB15_33:
                                        ; implicit-def: $sgpr10_sgpr11
	s_branch .LBB15_2
	.section	.rodata,"a",@progbits
	.p2align	6, 0x0
	.amdhsa_kernel _ZN4vllm15rms_norm_kernelIfLi16ELi3EEEvPT_PKS1_lllllS4_fii
		.amdhsa_group_segment_fixed_size 132
		.amdhsa_private_segment_fixed_size 0
		.amdhsa_kernarg_size 336
		.amdhsa_user_sgpr_count 15
		.amdhsa_user_sgpr_dispatch_ptr 0
		.amdhsa_user_sgpr_queue_ptr 0
		.amdhsa_user_sgpr_kernarg_segment_ptr 1
		.amdhsa_user_sgpr_dispatch_id 0
		.amdhsa_user_sgpr_private_segment_size 0
		.amdhsa_wavefront_size32 1
		.amdhsa_uses_dynamic_stack 0
		.amdhsa_enable_private_segment 0
		.amdhsa_system_sgpr_workgroup_id_x 1
		.amdhsa_system_sgpr_workgroup_id_y 0
		.amdhsa_system_sgpr_workgroup_id_z 0
		.amdhsa_system_sgpr_workgroup_info 0
		.amdhsa_system_vgpr_workitem_id 0
		.amdhsa_next_free_vgpr 37
		.amdhsa_next_free_sgpr 22
		.amdhsa_reserve_vcc 1
		.amdhsa_float_round_mode_32 0
		.amdhsa_float_round_mode_16_64 0
		.amdhsa_float_denorm_mode_32 3
		.amdhsa_float_denorm_mode_16_64 3
		.amdhsa_dx10_clamp 1
		.amdhsa_ieee_mode 1
		.amdhsa_fp16_overflow 0
		.amdhsa_workgroup_processor_mode 1
		.amdhsa_memory_ordered 1
		.amdhsa_forward_progress 0
		.amdhsa_shared_vgpr_count 0
		.amdhsa_exception_fp_ieee_invalid_op 0
		.amdhsa_exception_fp_denorm_src 0
		.amdhsa_exception_fp_ieee_div_zero 0
		.amdhsa_exception_fp_ieee_overflow 0
		.amdhsa_exception_fp_ieee_underflow 0
		.amdhsa_exception_fp_ieee_inexact 0
		.amdhsa_exception_int_div_zero 0
	.end_amdhsa_kernel
	.section	.text._ZN4vllm15rms_norm_kernelIfLi16ELi3EEEvPT_PKS1_lllllS4_fii,"axG",@progbits,_ZN4vllm15rms_norm_kernelIfLi16ELi3EEEvPT_PKS1_lllllS4_fii,comdat
.Lfunc_end15:
	.size	_ZN4vllm15rms_norm_kernelIfLi16ELi3EEEvPT_PKS1_lllllS4_fii, .Lfunc_end15-_ZN4vllm15rms_norm_kernelIfLi16ELi3EEEvPT_PKS1_lllllS4_fii
                                        ; -- End function
	.section	.AMDGPU.csdata,"",@progbits
; Kernel info:
; codeLenInByte = 3100
; NumSgprs: 24
; NumVgprs: 37
; ScratchSize: 0
; MemoryBound: 0
; FloatMode: 240
; IeeeMode: 1
; LDSByteSize: 132 bytes/workgroup (compile time only)
; SGPRBlocks: 2
; VGPRBlocks: 4
; NumSGPRsForWavesPerEU: 24
; NumVGPRsForWavesPerEU: 37
; Occupancy: 16
; WaveLimiterHint : 0
; COMPUTE_PGM_RSRC2:SCRATCH_EN: 0
; COMPUTE_PGM_RSRC2:USER_SGPR: 15
; COMPUTE_PGM_RSRC2:TRAP_HANDLER: 0
; COMPUTE_PGM_RSRC2:TGID_X_EN: 1
; COMPUTE_PGM_RSRC2:TGID_Y_EN: 0
; COMPUTE_PGM_RSRC2:TGID_Z_EN: 0
; COMPUTE_PGM_RSRC2:TIDIG_COMP_CNT: 0
	.section	.text._ZN4vllm15rms_norm_kernelIfLi8ELi3EEEvPT_PKS1_lllllS4_fii,"axG",@progbits,_ZN4vllm15rms_norm_kernelIfLi8ELi3EEEvPT_PKS1_lllllS4_fii,comdat
	.protected	_ZN4vllm15rms_norm_kernelIfLi8ELi3EEEvPT_PKS1_lllllS4_fii ; -- Begin function _ZN4vllm15rms_norm_kernelIfLi8ELi3EEEvPT_PKS1_lllllS4_fii
	.globl	_ZN4vllm15rms_norm_kernelIfLi8ELi3EEEvPT_PKS1_lllllS4_fii
	.p2align	8
	.type	_ZN4vllm15rms_norm_kernelIfLi8ELi3EEEvPT_PKS1_lllllS4_fii,@function
_ZN4vllm15rms_norm_kernelIfLi8ELi3EEEvPT_PKS1_lllllS4_fii: ; @_ZN4vllm15rms_norm_kernelIfLi8ELi3EEEvPT_PKS1_lllllS4_fii
; %bb.0:
	s_clause 0x1
	s_load_b64 s[2:3], s[0:1], 0x28
	s_load_b64 s[4:5], s[0:1], 0x8
	s_mov_b32 s6, 0
	s_waitcnt lgkmcnt(0)
	s_mov_b32 s7, s3
	s_delay_alu instid0(SALU_CYCLE_1)
	s_cmp_lg_u64 s[6:7], 0
	s_cbranch_scc0 .LBB16_33
; %bb.1:
	s_ashr_i32 s8, s3, 31
	s_delay_alu instid0(SALU_CYCLE_1) | instskip(SKIP_2) | instid1(SALU_CYCLE_1)
	s_add_u32 s10, s2, s8
	s_mov_b32 s9, s8
	s_addc_u32 s11, s3, s8
	s_xor_b64 s[10:11], s[10:11], s[8:9]
	s_delay_alu instid0(SALU_CYCLE_1) | instskip(SKIP_3) | instid1(VALU_DEP_1)
	v_cvt_f32_u32_e32 v1, s10
	v_cvt_f32_u32_e32 v2, s11
	s_sub_u32 s12, 0, s10
	s_subb_u32 s13, 0, s11
	v_fmamk_f32 v1, v2, 0x4f800000, v1
	s_delay_alu instid0(VALU_DEP_1) | instskip(SKIP_2) | instid1(VALU_DEP_1)
	v_rcp_f32_e32 v1, v1
	s_waitcnt_depctr 0xfff
	v_mul_f32_e32 v1, 0x5f7ffffc, v1
	v_mul_f32_e32 v2, 0x2f800000, v1
	s_delay_alu instid0(VALU_DEP_1) | instskip(NEXT) | instid1(VALU_DEP_1)
	v_trunc_f32_e32 v2, v2
	v_fmamk_f32 v1, v2, 0xcf800000, v1
	v_cvt_u32_f32_e32 v2, v2
	s_delay_alu instid0(VALU_DEP_2) | instskip(NEXT) | instid1(VALU_DEP_2)
	v_cvt_u32_f32_e32 v1, v1
	v_readfirstlane_b32 s3, v2
	s_delay_alu instid0(VALU_DEP_2) | instskip(NEXT) | instid1(VALU_DEP_2)
	v_readfirstlane_b32 s7, v1
	s_mul_i32 s14, s12, s3
	s_delay_alu instid0(VALU_DEP_1)
	s_mul_hi_u32 s17, s12, s7
	s_mul_i32 s16, s13, s7
	s_add_i32 s14, s17, s14
	s_mul_i32 s18, s12, s7
	s_add_i32 s14, s14, s16
	s_mul_hi_u32 s17, s7, s18
	s_mul_hi_u32 s19, s3, s18
	s_mul_i32 s16, s3, s18
	s_mul_hi_u32 s18, s7, s14
	s_mul_i32 s7, s7, s14
	s_mul_hi_u32 s20, s3, s14
	s_add_u32 s7, s17, s7
	s_addc_u32 s17, 0, s18
	s_add_u32 s7, s7, s16
	s_mul_i32 s14, s3, s14
	s_addc_u32 s7, s17, s19
	s_addc_u32 s16, s20, 0
	s_add_u32 s7, s7, s14
	s_addc_u32 s14, 0, s16
	v_add_co_u32 v1, s7, v1, s7
	s_delay_alu instid0(VALU_DEP_1) | instskip(SKIP_1) | instid1(VALU_DEP_1)
	s_cmp_lg_u32 s7, 0
	s_addc_u32 s3, s3, s14
	v_readfirstlane_b32 s7, v1
	s_mul_i32 s14, s12, s3
	s_delay_alu instid0(VALU_DEP_1)
	s_mul_hi_u32 s16, s12, s7
	s_mul_i32 s13, s13, s7
	s_add_i32 s14, s16, s14
	s_mul_i32 s12, s12, s7
	s_add_i32 s14, s14, s13
	s_mul_hi_u32 s16, s3, s12
	s_mul_i32 s17, s3, s12
	s_mul_hi_u32 s12, s7, s12
	s_mul_hi_u32 s18, s7, s14
	s_mul_i32 s7, s7, s14
	s_mul_hi_u32 s13, s3, s14
	s_add_u32 s7, s12, s7
	s_addc_u32 s12, 0, s18
	s_add_u32 s7, s7, s17
	s_mul_i32 s14, s3, s14
	s_addc_u32 s7, s12, s16
	s_addc_u32 s12, s13, 0
	s_add_u32 s7, s7, s14
	s_addc_u32 s12, 0, s12
	v_add_co_u32 v1, s7, v1, s7
	s_delay_alu instid0(VALU_DEP_1) | instskip(SKIP_1) | instid1(VALU_DEP_1)
	s_cmp_lg_u32 s7, 0
	s_addc_u32 s3, s3, s12
	v_readfirstlane_b32 s7, v1
	s_mul_i32 s12, s15, s3
	s_mul_hi_u32 s3, s15, s3
	s_delay_alu instid0(VALU_DEP_1) | instskip(NEXT) | instid1(SALU_CYCLE_1)
	s_mul_hi_u32 s7, s15, s7
	s_add_u32 s7, s7, s12
	s_addc_u32 s3, 0, s3
	s_add_u32 s7, s7, 0
	s_addc_u32 s3, s3, 0
	s_addc_u32 s7, 0, 0
	s_add_u32 s3, s3, 0
	s_addc_u32 s7, 0, s7
	s_mul_hi_u32 s12, s10, s3
	s_mul_i32 s14, s10, s7
	s_mul_i32 s16, s10, s3
	s_add_i32 s12, s12, s14
	v_sub_co_u32 v1, s14, s15, s16
	s_mul_i32 s13, s11, s3
	s_delay_alu instid0(SALU_CYCLE_1) | instskip(NEXT) | instid1(VALU_DEP_1)
	s_add_i32 s12, s12, s13
	v_sub_co_u32 v2, s16, v1, s10
	s_sub_i32 s13, 0, s12
	s_cmp_lg_u32 s14, 0
	s_subb_u32 s13, s13, s11
	s_cmp_lg_u32 s16, 0
	v_readfirstlane_b32 s16, v2
	s_subb_u32 s13, s13, 0
	s_delay_alu instid0(SALU_CYCLE_1) | instskip(SKIP_1) | instid1(VALU_DEP_1)
	s_cmp_ge_u32 s13, s11
	s_cselect_b32 s17, -1, 0
	s_cmp_ge_u32 s16, s10
	s_cselect_b32 s16, -1, 0
	s_cmp_eq_u32 s13, s11
	s_cselect_b32 s13, s16, s17
	s_add_u32 s16, s3, 1
	s_addc_u32 s17, s7, 0
	s_add_u32 s18, s3, 2
	s_addc_u32 s19, s7, 0
	s_cmp_lg_u32 s13, 0
	s_cselect_b32 s13, s18, s16
	s_cselect_b32 s16, s19, s17
	s_cmp_lg_u32 s14, 0
	v_readfirstlane_b32 s14, v1
	s_subb_u32 s12, 0, s12
	s_delay_alu instid0(SALU_CYCLE_1) | instskip(SKIP_1) | instid1(VALU_DEP_1)
	s_cmp_ge_u32 s12, s11
	s_cselect_b32 s17, -1, 0
	s_cmp_ge_u32 s14, s10
	s_cselect_b32 s10, -1, 0
	s_cmp_eq_u32 s12, s11
	s_cselect_b32 s10, s10, s17
	s_delay_alu instid0(SALU_CYCLE_1) | instskip(SKIP_2) | instid1(SALU_CYCLE_1)
	s_cmp_lg_u32 s10, 0
	s_cselect_b32 s11, s16, s7
	s_cselect_b32 s10, s13, s3
	s_xor_b64 s[10:11], s[10:11], s[8:9]
	s_delay_alu instid0(SALU_CYCLE_1)
	s_sub_u32 s10, s10, s8
	s_subb_u32 s11, s11, s8
	s_and_not1_b32 vcc_lo, exec_lo, s6
	s_cbranch_vccnz .LBB16_3
.LBB16_2:
	v_cvt_f32_u32_e32 v1, s2
	s_sub_i32 s6, 0, s2
	s_mov_b32 s11, 0
	s_delay_alu instid0(VALU_DEP_1) | instskip(SKIP_2) | instid1(VALU_DEP_1)
	v_rcp_iflag_f32_e32 v1, v1
	s_waitcnt_depctr 0xfff
	v_mul_f32_e32 v1, 0x4f7ffffe, v1
	v_cvt_u32_f32_e32 v1, v1
	s_delay_alu instid0(VALU_DEP_1) | instskip(NEXT) | instid1(VALU_DEP_1)
	v_readfirstlane_b32 s3, v1
	s_mul_i32 s6, s6, s3
	s_delay_alu instid0(SALU_CYCLE_1) | instskip(NEXT) | instid1(SALU_CYCLE_1)
	s_mul_hi_u32 s6, s3, s6
	s_add_i32 s3, s3, s6
	s_delay_alu instid0(SALU_CYCLE_1) | instskip(NEXT) | instid1(SALU_CYCLE_1)
	s_mul_hi_u32 s3, s15, s3
	s_mul_i32 s6, s3, s2
	s_add_i32 s7, s3, 1
	s_sub_i32 s6, s15, s6
	s_delay_alu instid0(SALU_CYCLE_1)
	s_sub_i32 s8, s6, s2
	s_cmp_ge_u32 s6, s2
	s_cselect_b32 s3, s7, s3
	s_cselect_b32 s6, s8, s6
	s_add_i32 s7, s3, 1
	s_cmp_ge_u32 s6, s2
	s_cselect_b32 s10, s7, s3
.LBB16_3:
	s_load_b128 s[16:19], s[0:1], 0x10
	s_bfe_i64 s[6:7], s[10:11], 0x200000
	s_clause 0x1
	s_load_b32 s3, s[0:1], 0x48
	s_load_b32 s14, s[0:1], 0x5c
	s_mul_i32 s2, s10, s2
	s_delay_alu instid0(SALU_CYCLE_1)
	s_sub_i32 s2, s15, s2
	s_waitcnt lgkmcnt(0)
	s_mul_i32 s6, s10, s19
	s_mul_hi_u32 s8, s10, s18
	s_mul_i32 s7, s7, s18
	s_add_i32 s8, s8, s6
	s_mul_i32 s6, s10, s18
	s_add_i32 s7, s8, s7
	s_mul_i32 s8, s2, s17
	s_lshl_b64 s[6:7], s[6:7], 2
	s_mul_hi_u32 s9, s2, s16
	s_add_u32 s10, s4, s6
	s_addc_u32 s13, s5, s7
	s_ashr_i32 s11, s2, 31
	s_add_i32 s9, s9, s8
	s_mul_i32 s11, s11, s16
	s_mul_i32 s8, s2, s16
	s_add_i32 s9, s9, s11
	s_mov_b32 s11, 0
	s_lshl_b64 s[8:9], s[8:9], 2
	s_delay_alu instid0(SALU_CYCLE_1)
	s_add_u32 s12, s10, s8
	s_addc_u32 s13, s13, s9
	s_and_b32 s10, s12, 31
	s_and_b32 s14, s14, 0xffff
	s_cmp_lg_u64 s[10:11], 0
	s_cselect_b32 s2, -1, 0
	s_and_b32 s10, s3, 7
	s_delay_alu instid0(SALU_CYCLE_1) | instskip(SKIP_1) | instid1(SALU_CYCLE_1)
	s_cmp_lg_u32 s10, 0
	s_cselect_b32 s10, -1, 0
	s_or_b32 s2, s10, s2
	s_delay_alu instid0(SALU_CYCLE_1)
	s_and_b32 vcc_lo, exec_lo, s2
	s_cbranch_vccz .LBB16_17
; %bb.4:
	s_sub_i32 s2, 0, s12
	v_mov_b32_e32 v4, 0
	s_bfe_u32 s2, s2, 0x30002
	s_mov_b32 s11, exec_lo
	s_min_i32 s10, s2, s3
	s_delay_alu instid0(SALU_CYCLE_1)
	v_cmpx_gt_i32_e64 s10, v0
	s_cbranch_execz .LBB16_8
; %bb.5:
	v_dual_mov_b32 v4, 0 :: v_dual_lshlrev_b32 v1, 2, v0
	s_add_u32 s2, s8, s6
	s_addc_u32 s16, s9, s7
	s_add_u32 s2, s4, s2
	s_addc_u32 s16, s5, s16
	v_add_co_u32 v1, s2, s2, v1
	s_delay_alu instid0(VALU_DEP_1)
	v_add_co_ci_u32_e64 v2, null, s16, 0, s2
	v_mov_b32_e32 v3, v0
	s_mov_b32 s16, 0
	s_lshl_b32 s17, s14, 2
.LBB16_6:                               ; =>This Inner Loop Header: Depth=1
	global_load_b32 v5, v[1:2], off
	v_add_nc_u32_e32 v3, s14, v3
	v_add_co_u32 v1, vcc_lo, v1, s17
	v_add_co_ci_u32_e32 v2, vcc_lo, 0, v2, vcc_lo
	s_waitcnt vmcnt(0)
	v_fmac_f32_e32 v4, v5, v5
	v_cmp_le_i32_e64 s2, s10, v3
	s_delay_alu instid0(VALU_DEP_1) | instskip(NEXT) | instid1(SALU_CYCLE_1)
	s_or_b32 s16, s2, s16
	s_and_not1_b32 exec_lo, exec_lo, s16
	s_cbranch_execnz .LBB16_6
; %bb.7:
	s_or_b32 exec_lo, exec_lo, s16
.LBB16_8:
	s_delay_alu instid0(SALU_CYCLE_1)
	s_or_b32 exec_lo, exec_lo, s11
	s_sub_i32 s16, s3, s10
	s_ashr_i32 s11, s10, 31
	s_ashr_i32 s2, s16, 31
	s_mov_b32 s18, exec_lo
	s_lshr_b32 s2, s2, 29
	s_delay_alu instid0(SALU_CYCLE_1) | instskip(NEXT) | instid1(SALU_CYCLE_1)
	s_add_i32 s2, s16, s2
	s_ashr_i32 s17, s2, 3
	s_delay_alu instid0(SALU_CYCLE_1)
	v_cmpx_gt_i32_e64 s17, v0
	s_cbranch_execz .LBB16_12
; %bb.9:
	s_add_u32 s2, s8, s6
	s_addc_u32 s19, s9, s7
	s_lshl_b64 s[20:21], s[10:11], 2
	v_lshlrev_b32_e32 v1, 5, v0
	s_add_u32 s20, s4, s20
	s_addc_u32 s21, s5, s21
	s_add_u32 s2, s20, s2
	s_addc_u32 s19, s21, s19
	v_add_co_u32 v1, s2, s2, v1
	s_delay_alu instid0(VALU_DEP_1)
	v_add_co_ci_u32_e64 v2, null, s19, 0, s2
	v_mov_b32_e32 v3, v0
	s_mov_b32 s19, 0
	s_lshl_b32 s20, s14, 5
	.p2align	6
.LBB16_10:                              ; =>This Inner Loop Header: Depth=1
	s_clause 0x1
	global_load_b128 v[5:8], v[1:2], off
	global_load_b128 v[9:12], v[1:2], off offset:16
	v_add_co_u32 v1, vcc_lo, v1, s20
	v_add_co_ci_u32_e32 v2, vcc_lo, 0, v2, vcc_lo
	v_add_nc_u32_e32 v3, s14, v3
	s_delay_alu instid0(VALU_DEP_1) | instskip(NEXT) | instid1(VALU_DEP_1)
	v_cmp_le_i32_e64 s2, s17, v3
	s_or_b32 s19, s2, s19
	s_waitcnt vmcnt(1)
	v_fmac_f32_e32 v4, v5, v5
	s_delay_alu instid0(VALU_DEP_1) | instskip(NEXT) | instid1(VALU_DEP_1)
	v_fmac_f32_e32 v4, v6, v6
	v_fmac_f32_e32 v4, v7, v7
	s_delay_alu instid0(VALU_DEP_1) | instskip(SKIP_1) | instid1(VALU_DEP_1)
	v_fmac_f32_e32 v4, v8, v8
	s_waitcnt vmcnt(0)
	v_fmac_f32_e32 v4, v9, v9
	s_delay_alu instid0(VALU_DEP_1) | instskip(NEXT) | instid1(VALU_DEP_1)
	v_fmac_f32_e32 v4, v10, v10
	v_fmac_f32_e32 v4, v11, v11
	s_delay_alu instid0(VALU_DEP_1)
	v_fmac_f32_e32 v4, v12, v12
	s_and_not1_b32 exec_lo, exec_lo, s19
	s_cbranch_execnz .LBB16_10
; %bb.11:
	s_or_b32 exec_lo, exec_lo, s19
.LBB16_12:
	s_delay_alu instid0(SALU_CYCLE_1) | instskip(SKIP_2) | instid1(VALU_DEP_1)
	s_or_b32 exec_lo, exec_lo, s18
	v_lshl_add_u32 v1, s17, 3, v0
	s_mov_b32 s17, exec_lo
	v_cmpx_gt_i32_e64 s16, v1
	s_cbranch_execz .LBB16_16
; %bb.13:
	v_ashrrev_i32_e32 v2, 31, v1
	s_add_u32 s2, s8, s6
	s_addc_u32 s18, s9, s7
	s_lshl_b64 s[10:11], s[10:11], 2
	s_delay_alu instid0(SALU_CYCLE_1)
	s_add_u32 s2, s2, s10
	v_lshlrev_b64 v[2:3], 2, v[1:2]
	s_addc_u32 s10, s18, s11
	s_add_u32 s2, s4, s2
	s_addc_u32 s10, s5, s10
	s_lshl_b32 s11, s14, 2
	s_delay_alu instid0(VALU_DEP_1)
	v_add_co_u32 v2, vcc_lo, s2, v2
	v_add_co_ci_u32_e32 v3, vcc_lo, s10, v3, vcc_lo
	s_mov_b32 s10, 0
.LBB16_14:                              ; =>This Inner Loop Header: Depth=1
	global_load_b32 v5, v[2:3], off
	v_add_nc_u32_e32 v1, s14, v1
	v_add_co_u32 v2, vcc_lo, v2, s11
	v_add_co_ci_u32_e32 v3, vcc_lo, 0, v3, vcc_lo
	s_delay_alu instid0(VALU_DEP_3) | instskip(NEXT) | instid1(VALU_DEP_1)
	v_cmp_le_i32_e64 s2, s16, v1
	s_or_b32 s10, s2, s10
	s_waitcnt vmcnt(0)
	v_fmac_f32_e32 v4, v5, v5
	s_and_not1_b32 exec_lo, exec_lo, s10
	s_cbranch_execnz .LBB16_14
; %bb.15:
	s_or_b32 exec_lo, exec_lo, s10
.LBB16_16:
	s_delay_alu instid0(SALU_CYCLE_1)
	s_or_b32 exec_lo, exec_lo, s17
	s_branch .LBB16_23
.LBB16_17:
                                        ; implicit-def: $vgpr4
	s_cbranch_execz .LBB16_23
; %bb.18:
	v_mov_b32_e32 v4, 0
	s_ashr_i32 s11, s3, 3
	s_mov_b32 s10, exec_lo
	v_cmpx_gt_i32_e64 s11, v0
	s_cbranch_execz .LBB16_22
; %bb.19:
	v_dual_mov_b32 v4, 0 :: v_dual_lshlrev_b32 v1, 5, v0
	s_add_u32 s2, s8, s6
	s_addc_u32 s6, s9, s7
	s_add_u32 s2, s4, s2
	s_addc_u32 s4, s5, s6
	v_add_co_u32 v1, s2, s2, v1
	s_delay_alu instid0(VALU_DEP_1)
	v_add_co_ci_u32_e64 v2, null, s4, 0, s2
	v_mov_b32_e32 v3, v0
	s_mov_b32 s4, 0
	s_lshl_b32 s5, s14, 5
	.p2align	6
.LBB16_20:                              ; =>This Inner Loop Header: Depth=1
	s_clause 0x1
	global_load_b128 v[5:8], v[1:2], off
	global_load_b128 v[9:12], v[1:2], off offset:16
	v_add_co_u32 v1, vcc_lo, v1, s5
	v_add_co_ci_u32_e32 v2, vcc_lo, 0, v2, vcc_lo
	v_add_nc_u32_e32 v3, s14, v3
	s_delay_alu instid0(VALU_DEP_1) | instskip(NEXT) | instid1(VALU_DEP_1)
	v_cmp_le_i32_e64 s2, s11, v3
	s_or_b32 s4, s2, s4
	s_waitcnt vmcnt(1)
	v_fmac_f32_e32 v4, v5, v5
	s_delay_alu instid0(VALU_DEP_1) | instskip(NEXT) | instid1(VALU_DEP_1)
	v_fmac_f32_e32 v4, v6, v6
	v_fmac_f32_e32 v4, v7, v7
	s_delay_alu instid0(VALU_DEP_1) | instskip(SKIP_1) | instid1(VALU_DEP_1)
	v_fmac_f32_e32 v4, v8, v8
	s_waitcnt vmcnt(0)
	v_fmac_f32_e32 v4, v9, v9
	s_delay_alu instid0(VALU_DEP_1) | instskip(NEXT) | instid1(VALU_DEP_1)
	v_fmac_f32_e32 v4, v10, v10
	v_fmac_f32_e32 v4, v11, v11
	s_delay_alu instid0(VALU_DEP_1)
	v_fmac_f32_e32 v4, v12, v12
	s_and_not1_b32 exec_lo, exec_lo, s4
	s_cbranch_execnz .LBB16_20
; %bb.21:
	s_or_b32 exec_lo, exec_lo, s4
.LBB16_22:
	s_delay_alu instid0(SALU_CYCLE_1)
	s_or_b32 exec_lo, exec_lo, s10
.LBB16_23:
	v_mbcnt_lo_u32_b32 v1, -1, 0
	v_and_b32_e32 v3, 0x3e0, v0
	s_mov_b32 s2, exec_lo
	s_delay_alu instid0(VALU_DEP_2) | instskip(NEXT) | instid1(VALU_DEP_2)
	v_cmp_ne_u32_e32 vcc_lo, 31, v1
	v_sub_nc_u32_e64 v12, s14, v3 clamp
	v_add_nc_u32_e32 v3, 1, v1
	v_add_co_ci_u32_e32 v2, vcc_lo, 0, v1, vcc_lo
	v_cmp_gt_u32_e32 vcc_lo, 30, v1
	s_delay_alu instid0(VALU_DEP_2)
	v_lshlrev_b32_e32 v2, 2, v2
	v_cndmask_b32_e64 v6, 0, 1, vcc_lo
	v_cmp_lt_u32_e32 vcc_lo, v3, v12
	ds_bpermute_b32 v5, v2, v4
	s_waitcnt lgkmcnt(0)
	v_dual_add_f32 v7, v4, v5 :: v_dual_lshlrev_b32 v6, 1, v6
	s_delay_alu instid0(VALU_DEP_1) | instskip(NEXT) | instid1(VALU_DEP_2)
	v_cndmask_b32_e32 v7, v4, v7, vcc_lo
	v_add_lshl_u32 v5, v6, v1, 2
	v_cmp_gt_u32_e32 vcc_lo, 28, v1
	ds_bpermute_b32 v6, v5, v7
	v_cndmask_b32_e64 v4, 0, 1, vcc_lo
	s_delay_alu instid0(VALU_DEP_1) | instskip(SKIP_1) | instid1(VALU_DEP_1)
	v_lshlrev_b32_e32 v8, 2, v4
	v_add_nc_u32_e32 v4, 2, v1
	v_cmp_lt_u32_e32 vcc_lo, v4, v12
	s_waitcnt lgkmcnt(0)
	v_add_f32_e32 v9, v7, v6
	v_add_lshl_u32 v6, v8, v1, 2
	s_delay_alu instid0(VALU_DEP_2) | instskip(SKIP_2) | instid1(VALU_DEP_1)
	v_cndmask_b32_e32 v9, v7, v9, vcc_lo
	v_cmp_gt_u32_e32 vcc_lo, 24, v1
	v_cndmask_b32_e64 v7, 0, 1, vcc_lo
	v_lshlrev_b32_e32 v10, 3, v7
	ds_bpermute_b32 v8, v6, v9
	v_add_nc_u32_e32 v7, 4, v1
	s_delay_alu instid0(VALU_DEP_1) | instskip(SKIP_3) | instid1(VALU_DEP_2)
	v_cmp_lt_u32_e32 vcc_lo, v7, v12
	s_waitcnt lgkmcnt(0)
	v_add_f32_e32 v11, v9, v8
	v_add_lshl_u32 v8, v10, v1, 2
	v_cndmask_b32_e32 v11, v9, v11, vcc_lo
	v_cmp_gt_u32_e32 vcc_lo, 16, v1
	ds_bpermute_b32 v10, v8, v11
	v_cndmask_b32_e64 v9, 0, 1, vcc_lo
	s_delay_alu instid0(VALU_DEP_1) | instskip(SKIP_1) | instid1(VALU_DEP_1)
	v_lshlrev_b32_e32 v13, 4, v9
	v_add_nc_u32_e32 v9, 8, v1
	v_cmp_lt_u32_e32 vcc_lo, v9, v12
	s_waitcnt lgkmcnt(0)
	v_add_f32_e32 v14, v11, v10
	v_add_lshl_u32 v10, v13, v1, 2
	s_delay_alu instid0(VALU_DEP_2)
	v_cndmask_b32_e32 v13, v11, v14, vcc_lo
	v_add_nc_u32_e32 v11, 16, v1
	ds_bpermute_b32 v14, v10, v13
	v_cmp_lt_u32_e32 vcc_lo, v11, v12
	s_waitcnt lgkmcnt(0)
	v_add_f32_e32 v14, v13, v14
	s_delay_alu instid0(VALU_DEP_1)
	v_cndmask_b32_e32 v12, v13, v14, vcc_lo
	v_cmpx_eq_u32_e32 0, v1
	s_cbranch_execz .LBB16_25
; %bb.24:
	v_lshrrev_b32_e32 v13, 3, v0
	s_delay_alu instid0(VALU_DEP_1)
	v_and_b32_e32 v13, 0x7c, v13
	ds_store_b32 v13, v12
.LBB16_25:
	s_or_b32 exec_lo, exec_lo, s2
	s_delay_alu instid0(SALU_CYCLE_1)
	s_mov_b32 s2, exec_lo
	s_waitcnt lgkmcnt(0)
	s_barrier
	buffer_gl0_inv
	v_cmpx_gt_u32_e32 32, v0
	s_cbranch_execz .LBB16_27
; %bb.26:
	v_lshlrev_b32_e32 v1, 2, v1
	s_add_i32 s4, s14, 31
	s_delay_alu instid0(SALU_CYCLE_1) | instskip(NEXT) | instid1(SALU_CYCLE_1)
	s_lshr_b32 s4, s4, 5
	v_cmp_gt_u32_e32 vcc_lo, s4, v3
	ds_load_b32 v1, v1
	s_waitcnt lgkmcnt(0)
	ds_bpermute_b32 v2, v2, v1
	s_waitcnt lgkmcnt(0)
	v_add_f32_e32 v2, v1, v2
	s_delay_alu instid0(VALU_DEP_1) | instskip(SKIP_4) | instid1(VALU_DEP_1)
	v_cndmask_b32_e32 v1, v1, v2, vcc_lo
	v_cmp_gt_u32_e32 vcc_lo, s4, v4
	ds_bpermute_b32 v2, v5, v1
	s_waitcnt lgkmcnt(0)
	v_add_f32_e32 v2, v1, v2
	v_cndmask_b32_e32 v1, v1, v2, vcc_lo
	v_cmp_gt_u32_e32 vcc_lo, s4, v7
	ds_bpermute_b32 v2, v6, v1
	s_waitcnt lgkmcnt(0)
	v_add_f32_e32 v2, v1, v2
	s_delay_alu instid0(VALU_DEP_1) | instskip(SKIP_4) | instid1(VALU_DEP_1)
	v_cndmask_b32_e32 v1, v1, v2, vcc_lo
	v_cmp_gt_u32_e32 vcc_lo, s4, v9
	ds_bpermute_b32 v2, v8, v1
	s_waitcnt lgkmcnt(0)
	v_add_f32_e32 v2, v1, v2
	v_cndmask_b32_e32 v1, v1, v2, vcc_lo
	v_cmp_gt_u32_e32 vcc_lo, s4, v11
	ds_bpermute_b32 v2, v10, v1
	s_waitcnt lgkmcnt(0)
	v_add_f32_e32 v2, v1, v2
	s_delay_alu instid0(VALU_DEP_1)
	v_cndmask_b32_e32 v12, v1, v2, vcc_lo
.LBB16_27:
	s_or_b32 exec_lo, exec_lo, s2
	s_delay_alu instid0(SALU_CYCLE_1)
	s_mov_b32 s2, exec_lo
	v_cmpx_eq_u32_e32 0, v0
	s_cbranch_execz .LBB16_29
; %bb.28:
	v_cvt_f32_i32_e32 v1, s3
	s_load_b32 s4, s[0:1], 0x40
	s_delay_alu instid0(VALU_DEP_1) | instskip(SKIP_1) | instid1(VALU_DEP_2)
	v_div_scale_f32 v2, null, v1, v1, v12
	v_div_scale_f32 v5, vcc_lo, v12, v1, v12
	v_rcp_f32_e32 v3, v2
	s_waitcnt_depctr 0xfff
	v_fma_f32 v4, -v2, v3, 1.0
	s_delay_alu instid0(VALU_DEP_1) | instskip(NEXT) | instid1(VALU_DEP_1)
	v_fmac_f32_e32 v3, v4, v3
	v_mul_f32_e32 v4, v5, v3
	s_delay_alu instid0(VALU_DEP_1) | instskip(NEXT) | instid1(VALU_DEP_1)
	v_fma_f32 v6, -v2, v4, v5
	v_fmac_f32_e32 v4, v6, v3
	s_delay_alu instid0(VALU_DEP_1) | instskip(NEXT) | instid1(VALU_DEP_1)
	v_fma_f32 v2, -v2, v4, v5
	v_div_fmas_f32 v2, v2, v3, v4
	s_delay_alu instid0(VALU_DEP_1) | instskip(SKIP_1) | instid1(VALU_DEP_1)
	v_div_fixup_f32 v1, v2, v1, v12
	s_waitcnt lgkmcnt(0)
	v_add_f32_e32 v1, s4, v1
	s_delay_alu instid0(VALU_DEP_1) | instskip(SKIP_1) | instid1(VALU_DEP_2)
	v_mul_f32_e32 v2, 0x4b800000, v1
	v_cmp_gt_f32_e32 vcc_lo, 0x800000, v1
	v_cndmask_b32_e32 v1, v1, v2, vcc_lo
	s_delay_alu instid0(VALU_DEP_1) | instskip(SKIP_2) | instid1(VALU_DEP_1)
	v_rsq_f32_e32 v1, v1
	s_waitcnt_depctr 0xfff
	v_mul_f32_e32 v2, 0x45800000, v1
	v_dual_cndmask_b32 v1, v1, v2 :: v_dual_mov_b32 v2, 0
	ds_store_b32 v2, v1 offset:128
.LBB16_29:
	s_or_b32 exec_lo, exec_lo, s2
	s_ashr_i32 s2, s3, 31
	s_waitcnt lgkmcnt(0)
	s_lshr_b32 s2, s2, 29
	s_barrier
	s_add_i32 s2, s3, s2
	buffer_gl0_inv
	s_ashr_i32 s4, s2, 3
	s_mov_b32 s2, exec_lo
	v_cmpx_gt_i32_e64 s4, v0
	s_cbranch_execz .LBB16_32
; %bb.30:
	v_dual_mov_b32 v1, 0 :: v_dual_lshlrev_b32 v2, 5, v0
	s_clause 0x1
	s_load_b64 s[6:7], s[0:1], 0x0
	s_load_b64 s[0:1], s[0:1], 0x38
	s_mul_i32 s2, s15, s3
	s_mov_b32 s3, 0
	ds_load_b32 v1, v1 offset:128
	s_lshl_b64 s[8:9], s[2:3], 2
	s_waitcnt lgkmcnt(0)
	s_add_u32 s2, s6, s8
	s_addc_u32 s5, s7, s9
	s_lshl_b32 s6, s14, 5
.LBB16_31:                              ; =>This Inner Loop Header: Depth=1
	v_add_co_u32 v7, s7, s12, v2
	s_delay_alu instid0(VALU_DEP_1) | instskip(SKIP_1) | instid1(VALU_DEP_1)
	v_add_co_ci_u32_e64 v8, null, s13, 0, s7
	v_add_co_u32 v15, s7, s0, v2
	v_add_co_ci_u32_e64 v16, null, s1, 0, s7
	s_clause 0x1
	global_load_b128 v[3:6], v[7:8], off
	global_load_b128 v[7:10], v[7:8], off offset:16
	s_clause 0x1
	global_load_b128 v[11:14], v[15:16], off
	global_load_b128 v[15:18], v[15:16], off offset:16
	v_add_nc_u32_e32 v0, s14, v0
	v_add_co_u32 v19, s7, s2, v2
	s_add_u32 s2, s2, s6
	v_add_co_ci_u32_e64 v20, null, s5, 0, s7
	s_addc_u32 s5, s5, 0
	s_add_u32 s12, s12, s6
	s_addc_u32 s13, s13, 0
	s_add_u32 s0, s0, s6
	s_addc_u32 s1, s1, 0
	s_waitcnt vmcnt(3)
	v_mul_f32_e32 v3, v3, v1
	v_mul_f32_e32 v4, v4, v1
	s_waitcnt vmcnt(2)
	v_mul_f32_e32 v7, v7, v1
	v_mul_f32_e32 v6, v6, v1
	s_waitcnt vmcnt(1)
	v_dual_mul_f32 v8, v8, v1 :: v_dual_mul_f32 v3, v3, v11
	v_dual_mul_f32 v5, v5, v1 :: v_dual_mul_f32 v4, v4, v12
	s_waitcnt vmcnt(0)
	s_delay_alu instid0(VALU_DEP_2) | instskip(SKIP_4) | instid1(VALU_DEP_4)
	v_dual_mul_f32 v9, v9, v1 :: v_dual_mul_f32 v8, v8, v16
	v_mul_f32_e32 v10, v10, v1
	v_cmp_le_i32_e32 vcc_lo, s4, v0
	v_mul_f32_e32 v5, v5, v13
	v_dual_mul_f32 v7, v7, v15 :: v_dual_mul_f32 v6, v6, v14
	v_dual_mul_f32 v10, v10, v18 :: v_dual_mul_f32 v9, v9, v17
	s_or_b32 s3, vcc_lo, s3
	s_clause 0x1
	global_store_b128 v[19:20], v[3:6], off
	global_store_b128 v[19:20], v[7:10], off offset:16
	s_and_not1_b32 exec_lo, exec_lo, s3
	s_cbranch_execnz .LBB16_31
.LBB16_32:
	s_nop 0
	s_sendmsg sendmsg(MSG_DEALLOC_VGPRS)
	s_endpgm
.LBB16_33:
                                        ; implicit-def: $sgpr10_sgpr11
	s_branch .LBB16_2
	.section	.rodata,"a",@progbits
	.p2align	6, 0x0
	.amdhsa_kernel _ZN4vllm15rms_norm_kernelIfLi8ELi3EEEvPT_PKS1_lllllS4_fii
		.amdhsa_group_segment_fixed_size 132
		.amdhsa_private_segment_fixed_size 0
		.amdhsa_kernarg_size 336
		.amdhsa_user_sgpr_count 15
		.amdhsa_user_sgpr_dispatch_ptr 0
		.amdhsa_user_sgpr_queue_ptr 0
		.amdhsa_user_sgpr_kernarg_segment_ptr 1
		.amdhsa_user_sgpr_dispatch_id 0
		.amdhsa_user_sgpr_private_segment_size 0
		.amdhsa_wavefront_size32 1
		.amdhsa_uses_dynamic_stack 0
		.amdhsa_enable_private_segment 0
		.amdhsa_system_sgpr_workgroup_id_x 1
		.amdhsa_system_sgpr_workgroup_id_y 0
		.amdhsa_system_sgpr_workgroup_id_z 0
		.amdhsa_system_sgpr_workgroup_info 0
		.amdhsa_system_vgpr_workitem_id 0
		.amdhsa_next_free_vgpr 21
		.amdhsa_next_free_sgpr 22
		.amdhsa_reserve_vcc 1
		.amdhsa_float_round_mode_32 0
		.amdhsa_float_round_mode_16_64 0
		.amdhsa_float_denorm_mode_32 3
		.amdhsa_float_denorm_mode_16_64 3
		.amdhsa_dx10_clamp 1
		.amdhsa_ieee_mode 1
		.amdhsa_fp16_overflow 0
		.amdhsa_workgroup_processor_mode 1
		.amdhsa_memory_ordered 1
		.amdhsa_forward_progress 0
		.amdhsa_shared_vgpr_count 0
		.amdhsa_exception_fp_ieee_invalid_op 0
		.amdhsa_exception_fp_denorm_src 0
		.amdhsa_exception_fp_ieee_div_zero 0
		.amdhsa_exception_fp_ieee_overflow 0
		.amdhsa_exception_fp_ieee_underflow 0
		.amdhsa_exception_fp_ieee_inexact 0
		.amdhsa_exception_int_div_zero 0
	.end_amdhsa_kernel
	.section	.text._ZN4vllm15rms_norm_kernelIfLi8ELi3EEEvPT_PKS1_lllllS4_fii,"axG",@progbits,_ZN4vllm15rms_norm_kernelIfLi8ELi3EEEvPT_PKS1_lllllS4_fii,comdat
.Lfunc_end16:
	.size	_ZN4vllm15rms_norm_kernelIfLi8ELi3EEEvPT_PKS1_lllllS4_fii, .Lfunc_end16-_ZN4vllm15rms_norm_kernelIfLi8ELi3EEEvPT_PKS1_lllllS4_fii
                                        ; -- End function
	.section	.AMDGPU.csdata,"",@progbits
; Kernel info:
; codeLenInByte = 2816
; NumSgprs: 24
; NumVgprs: 21
; ScratchSize: 0
; MemoryBound: 0
; FloatMode: 240
; IeeeMode: 1
; LDSByteSize: 132 bytes/workgroup (compile time only)
; SGPRBlocks: 2
; VGPRBlocks: 2
; NumSGPRsForWavesPerEU: 24
; NumVGPRsForWavesPerEU: 21
; Occupancy: 16
; WaveLimiterHint : 0
; COMPUTE_PGM_RSRC2:SCRATCH_EN: 0
; COMPUTE_PGM_RSRC2:USER_SGPR: 15
; COMPUTE_PGM_RSRC2:TRAP_HANDLER: 0
; COMPUTE_PGM_RSRC2:TGID_X_EN: 1
; COMPUTE_PGM_RSRC2:TGID_Y_EN: 0
; COMPUTE_PGM_RSRC2:TGID_Z_EN: 0
; COMPUTE_PGM_RSRC2:TIDIG_COMP_CNT: 0
	.section	.text._ZN4vllm15rms_norm_kernelIfLi4ELi3EEEvPT_PKS1_lllllS4_fii,"axG",@progbits,_ZN4vllm15rms_norm_kernelIfLi4ELi3EEEvPT_PKS1_lllllS4_fii,comdat
	.protected	_ZN4vllm15rms_norm_kernelIfLi4ELi3EEEvPT_PKS1_lllllS4_fii ; -- Begin function _ZN4vllm15rms_norm_kernelIfLi4ELi3EEEvPT_PKS1_lllllS4_fii
	.globl	_ZN4vllm15rms_norm_kernelIfLi4ELi3EEEvPT_PKS1_lllllS4_fii
	.p2align	8
	.type	_ZN4vllm15rms_norm_kernelIfLi4ELi3EEEvPT_PKS1_lllllS4_fii,@function
_ZN4vllm15rms_norm_kernelIfLi4ELi3EEEvPT_PKS1_lllllS4_fii: ; @_ZN4vllm15rms_norm_kernelIfLi4ELi3EEEvPT_PKS1_lllllS4_fii
; %bb.0:
	s_clause 0x1
	s_load_b64 s[2:3], s[0:1], 0x28
	s_load_b64 s[4:5], s[0:1], 0x8
	s_mov_b32 s6, 0
	s_waitcnt lgkmcnt(0)
	s_mov_b32 s7, s3
	s_delay_alu instid0(SALU_CYCLE_1)
	s_cmp_lg_u64 s[6:7], 0
	s_cbranch_scc0 .LBB17_33
; %bb.1:
	s_ashr_i32 s8, s3, 31
	s_delay_alu instid0(SALU_CYCLE_1) | instskip(SKIP_2) | instid1(SALU_CYCLE_1)
	s_add_u32 s10, s2, s8
	s_mov_b32 s9, s8
	s_addc_u32 s11, s3, s8
	s_xor_b64 s[10:11], s[10:11], s[8:9]
	s_delay_alu instid0(SALU_CYCLE_1) | instskip(SKIP_3) | instid1(VALU_DEP_1)
	v_cvt_f32_u32_e32 v1, s10
	v_cvt_f32_u32_e32 v2, s11
	s_sub_u32 s12, 0, s10
	s_subb_u32 s13, 0, s11
	v_fmamk_f32 v1, v2, 0x4f800000, v1
	s_delay_alu instid0(VALU_DEP_1) | instskip(SKIP_2) | instid1(VALU_DEP_1)
	v_rcp_f32_e32 v1, v1
	s_waitcnt_depctr 0xfff
	v_mul_f32_e32 v1, 0x5f7ffffc, v1
	v_mul_f32_e32 v2, 0x2f800000, v1
	s_delay_alu instid0(VALU_DEP_1) | instskip(NEXT) | instid1(VALU_DEP_1)
	v_trunc_f32_e32 v2, v2
	v_fmamk_f32 v1, v2, 0xcf800000, v1
	v_cvt_u32_f32_e32 v2, v2
	s_delay_alu instid0(VALU_DEP_2) | instskip(NEXT) | instid1(VALU_DEP_2)
	v_cvt_u32_f32_e32 v1, v1
	v_readfirstlane_b32 s3, v2
	s_delay_alu instid0(VALU_DEP_2) | instskip(NEXT) | instid1(VALU_DEP_2)
	v_readfirstlane_b32 s7, v1
	s_mul_i32 s14, s12, s3
	s_delay_alu instid0(VALU_DEP_1)
	s_mul_hi_u32 s17, s12, s7
	s_mul_i32 s16, s13, s7
	s_add_i32 s14, s17, s14
	s_mul_i32 s18, s12, s7
	s_add_i32 s14, s14, s16
	s_mul_hi_u32 s17, s7, s18
	s_mul_hi_u32 s19, s3, s18
	s_mul_i32 s16, s3, s18
	s_mul_hi_u32 s18, s7, s14
	s_mul_i32 s7, s7, s14
	s_mul_hi_u32 s20, s3, s14
	s_add_u32 s7, s17, s7
	s_addc_u32 s17, 0, s18
	s_add_u32 s7, s7, s16
	s_mul_i32 s14, s3, s14
	s_addc_u32 s7, s17, s19
	s_addc_u32 s16, s20, 0
	s_add_u32 s7, s7, s14
	s_addc_u32 s14, 0, s16
	v_add_co_u32 v1, s7, v1, s7
	s_delay_alu instid0(VALU_DEP_1) | instskip(SKIP_1) | instid1(VALU_DEP_1)
	s_cmp_lg_u32 s7, 0
	s_addc_u32 s3, s3, s14
	v_readfirstlane_b32 s7, v1
	s_mul_i32 s14, s12, s3
	s_delay_alu instid0(VALU_DEP_1)
	s_mul_hi_u32 s16, s12, s7
	s_mul_i32 s13, s13, s7
	s_add_i32 s14, s16, s14
	s_mul_i32 s12, s12, s7
	s_add_i32 s14, s14, s13
	s_mul_hi_u32 s16, s3, s12
	s_mul_i32 s17, s3, s12
	s_mul_hi_u32 s12, s7, s12
	s_mul_hi_u32 s18, s7, s14
	s_mul_i32 s7, s7, s14
	s_mul_hi_u32 s13, s3, s14
	s_add_u32 s7, s12, s7
	s_addc_u32 s12, 0, s18
	s_add_u32 s7, s7, s17
	s_mul_i32 s14, s3, s14
	s_addc_u32 s7, s12, s16
	s_addc_u32 s12, s13, 0
	s_add_u32 s7, s7, s14
	s_addc_u32 s12, 0, s12
	v_add_co_u32 v1, s7, v1, s7
	s_delay_alu instid0(VALU_DEP_1) | instskip(SKIP_1) | instid1(VALU_DEP_1)
	s_cmp_lg_u32 s7, 0
	s_addc_u32 s3, s3, s12
	v_readfirstlane_b32 s7, v1
	s_mul_i32 s12, s15, s3
	s_mul_hi_u32 s3, s15, s3
	s_delay_alu instid0(VALU_DEP_1) | instskip(NEXT) | instid1(SALU_CYCLE_1)
	s_mul_hi_u32 s7, s15, s7
	s_add_u32 s7, s7, s12
	s_addc_u32 s3, 0, s3
	s_add_u32 s7, s7, 0
	s_addc_u32 s3, s3, 0
	s_addc_u32 s7, 0, 0
	s_add_u32 s3, s3, 0
	s_addc_u32 s7, 0, s7
	s_mul_hi_u32 s12, s10, s3
	s_mul_i32 s14, s10, s7
	s_mul_i32 s16, s10, s3
	s_add_i32 s12, s12, s14
	v_sub_co_u32 v1, s14, s15, s16
	s_mul_i32 s13, s11, s3
	s_delay_alu instid0(SALU_CYCLE_1) | instskip(NEXT) | instid1(VALU_DEP_1)
	s_add_i32 s12, s12, s13
	v_sub_co_u32 v2, s16, v1, s10
	s_sub_i32 s13, 0, s12
	s_cmp_lg_u32 s14, 0
	s_subb_u32 s13, s13, s11
	s_cmp_lg_u32 s16, 0
	v_readfirstlane_b32 s16, v2
	s_subb_u32 s13, s13, 0
	s_delay_alu instid0(SALU_CYCLE_1) | instskip(SKIP_1) | instid1(VALU_DEP_1)
	s_cmp_ge_u32 s13, s11
	s_cselect_b32 s17, -1, 0
	s_cmp_ge_u32 s16, s10
	s_cselect_b32 s16, -1, 0
	s_cmp_eq_u32 s13, s11
	s_cselect_b32 s13, s16, s17
	s_add_u32 s16, s3, 1
	s_addc_u32 s17, s7, 0
	s_add_u32 s18, s3, 2
	s_addc_u32 s19, s7, 0
	s_cmp_lg_u32 s13, 0
	s_cselect_b32 s13, s18, s16
	s_cselect_b32 s16, s19, s17
	s_cmp_lg_u32 s14, 0
	v_readfirstlane_b32 s14, v1
	s_subb_u32 s12, 0, s12
	s_delay_alu instid0(SALU_CYCLE_1) | instskip(SKIP_1) | instid1(VALU_DEP_1)
	s_cmp_ge_u32 s12, s11
	s_cselect_b32 s17, -1, 0
	s_cmp_ge_u32 s14, s10
	s_cselect_b32 s10, -1, 0
	s_cmp_eq_u32 s12, s11
	s_cselect_b32 s10, s10, s17
	s_delay_alu instid0(SALU_CYCLE_1) | instskip(SKIP_2) | instid1(SALU_CYCLE_1)
	s_cmp_lg_u32 s10, 0
	s_cselect_b32 s11, s16, s7
	s_cselect_b32 s10, s13, s3
	s_xor_b64 s[10:11], s[10:11], s[8:9]
	s_delay_alu instid0(SALU_CYCLE_1)
	s_sub_u32 s10, s10, s8
	s_subb_u32 s11, s11, s8
	s_and_not1_b32 vcc_lo, exec_lo, s6
	s_cbranch_vccnz .LBB17_3
.LBB17_2:
	v_cvt_f32_u32_e32 v1, s2
	s_sub_i32 s6, 0, s2
	s_mov_b32 s11, 0
	s_delay_alu instid0(VALU_DEP_1) | instskip(SKIP_2) | instid1(VALU_DEP_1)
	v_rcp_iflag_f32_e32 v1, v1
	s_waitcnt_depctr 0xfff
	v_mul_f32_e32 v1, 0x4f7ffffe, v1
	v_cvt_u32_f32_e32 v1, v1
	s_delay_alu instid0(VALU_DEP_1) | instskip(NEXT) | instid1(VALU_DEP_1)
	v_readfirstlane_b32 s3, v1
	s_mul_i32 s6, s6, s3
	s_delay_alu instid0(SALU_CYCLE_1) | instskip(NEXT) | instid1(SALU_CYCLE_1)
	s_mul_hi_u32 s6, s3, s6
	s_add_i32 s3, s3, s6
	s_delay_alu instid0(SALU_CYCLE_1) | instskip(NEXT) | instid1(SALU_CYCLE_1)
	s_mul_hi_u32 s3, s15, s3
	s_mul_i32 s6, s3, s2
	s_add_i32 s7, s3, 1
	s_sub_i32 s6, s15, s6
	s_delay_alu instid0(SALU_CYCLE_1)
	s_sub_i32 s8, s6, s2
	s_cmp_ge_u32 s6, s2
	s_cselect_b32 s3, s7, s3
	s_cselect_b32 s6, s8, s6
	s_add_i32 s7, s3, 1
	s_cmp_ge_u32 s6, s2
	s_cselect_b32 s10, s7, s3
.LBB17_3:
	s_load_b128 s[16:19], s[0:1], 0x10
	s_bfe_i64 s[6:7], s[10:11], 0x200000
	s_clause 0x1
	s_load_b32 s3, s[0:1], 0x48
	s_load_b32 s14, s[0:1], 0x5c
	s_mul_i32 s2, s10, s2
	s_delay_alu instid0(SALU_CYCLE_1)
	s_sub_i32 s2, s15, s2
	s_waitcnt lgkmcnt(0)
	s_mul_i32 s6, s10, s19
	s_mul_hi_u32 s8, s10, s18
	s_mul_i32 s7, s7, s18
	s_add_i32 s8, s8, s6
	s_mul_i32 s6, s10, s18
	s_add_i32 s7, s8, s7
	s_mul_i32 s8, s2, s17
	s_lshl_b64 s[6:7], s[6:7], 2
	s_mul_hi_u32 s9, s2, s16
	s_add_u32 s10, s4, s6
	s_addc_u32 s13, s5, s7
	s_ashr_i32 s11, s2, 31
	s_add_i32 s9, s9, s8
	s_mul_i32 s11, s11, s16
	s_mul_i32 s8, s2, s16
	s_add_i32 s9, s9, s11
	s_mov_b32 s11, 0
	s_lshl_b64 s[8:9], s[8:9], 2
	s_delay_alu instid0(SALU_CYCLE_1)
	s_add_u32 s12, s10, s8
	s_addc_u32 s13, s13, s9
	s_and_b32 s10, s12, 15
	s_and_b32 s14, s14, 0xffff
	s_cmp_lg_u64 s[10:11], 0
	s_cselect_b32 s2, -1, 0
	s_and_b32 s10, s3, 3
	s_delay_alu instid0(SALU_CYCLE_1) | instskip(SKIP_1) | instid1(SALU_CYCLE_1)
	s_cmp_lg_u32 s10, 0
	s_cselect_b32 s10, -1, 0
	s_or_b32 s2, s10, s2
	s_delay_alu instid0(SALU_CYCLE_1)
	s_and_b32 vcc_lo, exec_lo, s2
	s_cbranch_vccz .LBB17_17
; %bb.4:
	s_sub_i32 s2, 0, s12
	v_mov_b32_e32 v4, 0
	s_bfe_u32 s2, s2, 0x20002
	s_mov_b32 s11, exec_lo
	s_min_i32 s10, s2, s3
	s_delay_alu instid0(SALU_CYCLE_1)
	v_cmpx_gt_i32_e64 s10, v0
	s_cbranch_execz .LBB17_8
; %bb.5:
	v_dual_mov_b32 v4, 0 :: v_dual_lshlrev_b32 v1, 2, v0
	s_add_u32 s2, s8, s6
	s_addc_u32 s16, s9, s7
	s_add_u32 s2, s4, s2
	s_addc_u32 s16, s5, s16
	v_add_co_u32 v1, s2, s2, v1
	s_delay_alu instid0(VALU_DEP_1)
	v_add_co_ci_u32_e64 v2, null, s16, 0, s2
	v_mov_b32_e32 v3, v0
	s_mov_b32 s16, 0
	s_lshl_b32 s17, s14, 2
.LBB17_6:                               ; =>This Inner Loop Header: Depth=1
	global_load_b32 v5, v[1:2], off
	v_add_nc_u32_e32 v3, s14, v3
	v_add_co_u32 v1, vcc_lo, v1, s17
	v_add_co_ci_u32_e32 v2, vcc_lo, 0, v2, vcc_lo
	s_waitcnt vmcnt(0)
	v_fmac_f32_e32 v4, v5, v5
	v_cmp_le_i32_e64 s2, s10, v3
	s_delay_alu instid0(VALU_DEP_1) | instskip(NEXT) | instid1(SALU_CYCLE_1)
	s_or_b32 s16, s2, s16
	s_and_not1_b32 exec_lo, exec_lo, s16
	s_cbranch_execnz .LBB17_6
; %bb.7:
	s_or_b32 exec_lo, exec_lo, s16
.LBB17_8:
	s_delay_alu instid0(SALU_CYCLE_1)
	s_or_b32 exec_lo, exec_lo, s11
	s_sub_i32 s16, s3, s10
	s_ashr_i32 s11, s10, 31
	s_ashr_i32 s2, s16, 31
	s_mov_b32 s18, exec_lo
	s_lshr_b32 s2, s2, 30
	s_delay_alu instid0(SALU_CYCLE_1) | instskip(NEXT) | instid1(SALU_CYCLE_1)
	s_add_i32 s2, s16, s2
	s_ashr_i32 s17, s2, 2
	s_delay_alu instid0(SALU_CYCLE_1)
	v_cmpx_gt_i32_e64 s17, v0
	s_cbranch_execz .LBB17_12
; %bb.9:
	s_add_u32 s2, s8, s6
	s_addc_u32 s19, s9, s7
	s_lshl_b64 s[20:21], s[10:11], 2
	v_lshlrev_b32_e32 v1, 4, v0
	s_add_u32 s20, s4, s20
	s_addc_u32 s21, s5, s21
	s_add_u32 s2, s20, s2
	s_addc_u32 s19, s21, s19
	v_add_co_u32 v1, s2, s2, v1
	s_delay_alu instid0(VALU_DEP_1)
	v_add_co_ci_u32_e64 v2, null, s19, 0, s2
	v_mov_b32_e32 v3, v0
	s_mov_b32 s19, 0
	s_lshl_b32 s20, s14, 4
.LBB17_10:                              ; =>This Inner Loop Header: Depth=1
	global_load_b128 v[5:8], v[1:2], off
	v_add_co_u32 v1, vcc_lo, v1, s20
	v_add_co_ci_u32_e32 v2, vcc_lo, 0, v2, vcc_lo
	v_add_nc_u32_e32 v3, s14, v3
	s_delay_alu instid0(VALU_DEP_1) | instskip(NEXT) | instid1(VALU_DEP_1)
	v_cmp_le_i32_e64 s2, s17, v3
	s_or_b32 s19, s2, s19
	s_waitcnt vmcnt(0)
	v_fmac_f32_e32 v4, v5, v5
	s_delay_alu instid0(VALU_DEP_1) | instskip(NEXT) | instid1(VALU_DEP_1)
	v_fmac_f32_e32 v4, v6, v6
	v_fmac_f32_e32 v4, v7, v7
	s_delay_alu instid0(VALU_DEP_1)
	v_fmac_f32_e32 v4, v8, v8
	s_and_not1_b32 exec_lo, exec_lo, s19
	s_cbranch_execnz .LBB17_10
; %bb.11:
	s_or_b32 exec_lo, exec_lo, s19
.LBB17_12:
	s_delay_alu instid0(SALU_CYCLE_1) | instskip(SKIP_2) | instid1(VALU_DEP_1)
	s_or_b32 exec_lo, exec_lo, s18
	v_lshl_add_u32 v1, s17, 2, v0
	s_mov_b32 s17, exec_lo
	v_cmpx_gt_i32_e64 s16, v1
	s_cbranch_execz .LBB17_16
; %bb.13:
	v_ashrrev_i32_e32 v2, 31, v1
	s_add_u32 s2, s8, s6
	s_addc_u32 s18, s9, s7
	s_lshl_b64 s[10:11], s[10:11], 2
	s_delay_alu instid0(SALU_CYCLE_1)
	s_add_u32 s2, s2, s10
	v_lshlrev_b64 v[2:3], 2, v[1:2]
	s_addc_u32 s10, s18, s11
	s_add_u32 s2, s4, s2
	s_addc_u32 s10, s5, s10
	s_lshl_b32 s11, s14, 2
	s_delay_alu instid0(VALU_DEP_1)
	v_add_co_u32 v2, vcc_lo, s2, v2
	v_add_co_ci_u32_e32 v3, vcc_lo, s10, v3, vcc_lo
	s_mov_b32 s10, 0
.LBB17_14:                              ; =>This Inner Loop Header: Depth=1
	global_load_b32 v5, v[2:3], off
	v_add_nc_u32_e32 v1, s14, v1
	v_add_co_u32 v2, vcc_lo, v2, s11
	v_add_co_ci_u32_e32 v3, vcc_lo, 0, v3, vcc_lo
	s_delay_alu instid0(VALU_DEP_3) | instskip(NEXT) | instid1(VALU_DEP_1)
	v_cmp_le_i32_e64 s2, s16, v1
	s_or_b32 s10, s2, s10
	s_waitcnt vmcnt(0)
	v_fmac_f32_e32 v4, v5, v5
	s_and_not1_b32 exec_lo, exec_lo, s10
	s_cbranch_execnz .LBB17_14
; %bb.15:
	s_or_b32 exec_lo, exec_lo, s10
.LBB17_16:
	s_delay_alu instid0(SALU_CYCLE_1)
	s_or_b32 exec_lo, exec_lo, s17
	s_branch .LBB17_23
.LBB17_17:
                                        ; implicit-def: $vgpr4
	s_cbranch_execz .LBB17_23
; %bb.18:
	v_mov_b32_e32 v4, 0
	s_ashr_i32 s11, s3, 2
	s_mov_b32 s10, exec_lo
	v_cmpx_gt_i32_e64 s11, v0
	s_cbranch_execz .LBB17_22
; %bb.19:
	v_dual_mov_b32 v4, 0 :: v_dual_lshlrev_b32 v1, 4, v0
	s_add_u32 s2, s8, s6
	s_addc_u32 s6, s9, s7
	s_add_u32 s2, s4, s2
	s_addc_u32 s4, s5, s6
	v_add_co_u32 v1, s2, s2, v1
	s_delay_alu instid0(VALU_DEP_1) | instskip(SKIP_1) | instid1(VALU_DEP_3)
	v_add_co_ci_u32_e64 v2, null, s4, 0, s2
	v_mov_b32_e32 v3, v0
	v_add_co_u32 v1, vcc_lo, v1, 8
	s_delay_alu instid0(VALU_DEP_3)
	v_add_co_ci_u32_e32 v2, vcc_lo, 0, v2, vcc_lo
	s_mov_b32 s4, 0
	s_lshl_b32 s5, s14, 4
.LBB17_20:                              ; =>This Inner Loop Header: Depth=1
	global_load_b128 v[5:8], v[1:2], off offset:-8
	v_add_co_u32 v1, vcc_lo, v1, s5
	v_add_co_ci_u32_e32 v2, vcc_lo, 0, v2, vcc_lo
	v_add_nc_u32_e32 v3, s14, v3
	s_delay_alu instid0(VALU_DEP_1) | instskip(NEXT) | instid1(VALU_DEP_1)
	v_cmp_le_i32_e64 s2, s11, v3
	s_or_b32 s4, s2, s4
	s_waitcnt vmcnt(0)
	v_fmac_f32_e32 v4, v5, v5
	s_delay_alu instid0(VALU_DEP_1) | instskip(NEXT) | instid1(VALU_DEP_1)
	v_fmac_f32_e32 v4, v6, v6
	v_fmac_f32_e32 v4, v7, v7
	s_delay_alu instid0(VALU_DEP_1)
	v_fmac_f32_e32 v4, v8, v8
	s_and_not1_b32 exec_lo, exec_lo, s4
	s_cbranch_execnz .LBB17_20
; %bb.21:
	s_or_b32 exec_lo, exec_lo, s4
.LBB17_22:
	s_delay_alu instid0(SALU_CYCLE_1)
	s_or_b32 exec_lo, exec_lo, s10
.LBB17_23:
	v_mbcnt_lo_u32_b32 v1, -1, 0
	v_and_b32_e32 v3, 0x3e0, v0
	s_mov_b32 s2, exec_lo
	s_delay_alu instid0(VALU_DEP_2) | instskip(NEXT) | instid1(VALU_DEP_2)
	v_cmp_ne_u32_e32 vcc_lo, 31, v1
	v_sub_nc_u32_e64 v12, s14, v3 clamp
	v_add_nc_u32_e32 v3, 1, v1
	v_add_co_ci_u32_e32 v2, vcc_lo, 0, v1, vcc_lo
	v_cmp_gt_u32_e32 vcc_lo, 30, v1
	s_delay_alu instid0(VALU_DEP_2)
	v_lshlrev_b32_e32 v2, 2, v2
	v_cndmask_b32_e64 v6, 0, 1, vcc_lo
	v_cmp_lt_u32_e32 vcc_lo, v3, v12
	ds_bpermute_b32 v5, v2, v4
	s_waitcnt lgkmcnt(0)
	v_dual_add_f32 v7, v4, v5 :: v_dual_lshlrev_b32 v6, 1, v6
	s_delay_alu instid0(VALU_DEP_1) | instskip(NEXT) | instid1(VALU_DEP_2)
	v_cndmask_b32_e32 v7, v4, v7, vcc_lo
	v_add_lshl_u32 v5, v6, v1, 2
	v_cmp_gt_u32_e32 vcc_lo, 28, v1
	ds_bpermute_b32 v6, v5, v7
	v_cndmask_b32_e64 v4, 0, 1, vcc_lo
	s_delay_alu instid0(VALU_DEP_1) | instskip(SKIP_1) | instid1(VALU_DEP_1)
	v_lshlrev_b32_e32 v8, 2, v4
	v_add_nc_u32_e32 v4, 2, v1
	v_cmp_lt_u32_e32 vcc_lo, v4, v12
	s_waitcnt lgkmcnt(0)
	v_add_f32_e32 v9, v7, v6
	v_add_lshl_u32 v6, v8, v1, 2
	s_delay_alu instid0(VALU_DEP_2) | instskip(SKIP_2) | instid1(VALU_DEP_1)
	v_cndmask_b32_e32 v9, v7, v9, vcc_lo
	v_cmp_gt_u32_e32 vcc_lo, 24, v1
	v_cndmask_b32_e64 v7, 0, 1, vcc_lo
	v_lshlrev_b32_e32 v10, 3, v7
	ds_bpermute_b32 v8, v6, v9
	v_add_nc_u32_e32 v7, 4, v1
	s_delay_alu instid0(VALU_DEP_1) | instskip(SKIP_3) | instid1(VALU_DEP_2)
	v_cmp_lt_u32_e32 vcc_lo, v7, v12
	s_waitcnt lgkmcnt(0)
	v_add_f32_e32 v11, v9, v8
	v_add_lshl_u32 v8, v10, v1, 2
	v_cndmask_b32_e32 v11, v9, v11, vcc_lo
	v_cmp_gt_u32_e32 vcc_lo, 16, v1
	ds_bpermute_b32 v10, v8, v11
	v_cndmask_b32_e64 v9, 0, 1, vcc_lo
	s_delay_alu instid0(VALU_DEP_1) | instskip(SKIP_1) | instid1(VALU_DEP_1)
	v_lshlrev_b32_e32 v13, 4, v9
	v_add_nc_u32_e32 v9, 8, v1
	v_cmp_lt_u32_e32 vcc_lo, v9, v12
	s_waitcnt lgkmcnt(0)
	v_add_f32_e32 v14, v11, v10
	v_add_lshl_u32 v10, v13, v1, 2
	s_delay_alu instid0(VALU_DEP_2)
	v_cndmask_b32_e32 v13, v11, v14, vcc_lo
	v_add_nc_u32_e32 v11, 16, v1
	ds_bpermute_b32 v14, v10, v13
	v_cmp_lt_u32_e32 vcc_lo, v11, v12
	s_waitcnt lgkmcnt(0)
	v_add_f32_e32 v14, v13, v14
	s_delay_alu instid0(VALU_DEP_1)
	v_cndmask_b32_e32 v12, v13, v14, vcc_lo
	v_cmpx_eq_u32_e32 0, v1
	s_cbranch_execz .LBB17_25
; %bb.24:
	v_lshrrev_b32_e32 v13, 3, v0
	s_delay_alu instid0(VALU_DEP_1)
	v_and_b32_e32 v13, 0x7c, v13
	ds_store_b32 v13, v12
.LBB17_25:
	s_or_b32 exec_lo, exec_lo, s2
	s_delay_alu instid0(SALU_CYCLE_1)
	s_mov_b32 s2, exec_lo
	s_waitcnt lgkmcnt(0)
	s_barrier
	buffer_gl0_inv
	v_cmpx_gt_u32_e32 32, v0
	s_cbranch_execz .LBB17_27
; %bb.26:
	v_lshlrev_b32_e32 v1, 2, v1
	s_add_i32 s4, s14, 31
	s_delay_alu instid0(SALU_CYCLE_1) | instskip(NEXT) | instid1(SALU_CYCLE_1)
	s_lshr_b32 s4, s4, 5
	v_cmp_gt_u32_e32 vcc_lo, s4, v3
	ds_load_b32 v1, v1
	s_waitcnt lgkmcnt(0)
	ds_bpermute_b32 v2, v2, v1
	s_waitcnt lgkmcnt(0)
	v_add_f32_e32 v2, v1, v2
	s_delay_alu instid0(VALU_DEP_1) | instskip(SKIP_4) | instid1(VALU_DEP_1)
	v_cndmask_b32_e32 v1, v1, v2, vcc_lo
	v_cmp_gt_u32_e32 vcc_lo, s4, v4
	ds_bpermute_b32 v2, v5, v1
	s_waitcnt lgkmcnt(0)
	v_add_f32_e32 v2, v1, v2
	v_cndmask_b32_e32 v1, v1, v2, vcc_lo
	v_cmp_gt_u32_e32 vcc_lo, s4, v7
	ds_bpermute_b32 v2, v6, v1
	s_waitcnt lgkmcnt(0)
	v_add_f32_e32 v2, v1, v2
	s_delay_alu instid0(VALU_DEP_1) | instskip(SKIP_4) | instid1(VALU_DEP_1)
	v_cndmask_b32_e32 v1, v1, v2, vcc_lo
	v_cmp_gt_u32_e32 vcc_lo, s4, v9
	ds_bpermute_b32 v2, v8, v1
	s_waitcnt lgkmcnt(0)
	v_add_f32_e32 v2, v1, v2
	v_cndmask_b32_e32 v1, v1, v2, vcc_lo
	v_cmp_gt_u32_e32 vcc_lo, s4, v11
	ds_bpermute_b32 v2, v10, v1
	s_waitcnt lgkmcnt(0)
	v_add_f32_e32 v2, v1, v2
	s_delay_alu instid0(VALU_DEP_1)
	v_cndmask_b32_e32 v12, v1, v2, vcc_lo
.LBB17_27:
	s_or_b32 exec_lo, exec_lo, s2
	s_delay_alu instid0(SALU_CYCLE_1)
	s_mov_b32 s2, exec_lo
	v_cmpx_eq_u32_e32 0, v0
	s_cbranch_execz .LBB17_29
; %bb.28:
	v_cvt_f32_i32_e32 v1, s3
	s_load_b32 s4, s[0:1], 0x40
	s_delay_alu instid0(VALU_DEP_1) | instskip(SKIP_1) | instid1(VALU_DEP_2)
	v_div_scale_f32 v2, null, v1, v1, v12
	v_div_scale_f32 v5, vcc_lo, v12, v1, v12
	v_rcp_f32_e32 v3, v2
	s_waitcnt_depctr 0xfff
	v_fma_f32 v4, -v2, v3, 1.0
	s_delay_alu instid0(VALU_DEP_1) | instskip(NEXT) | instid1(VALU_DEP_1)
	v_fmac_f32_e32 v3, v4, v3
	v_mul_f32_e32 v4, v5, v3
	s_delay_alu instid0(VALU_DEP_1) | instskip(NEXT) | instid1(VALU_DEP_1)
	v_fma_f32 v6, -v2, v4, v5
	v_fmac_f32_e32 v4, v6, v3
	s_delay_alu instid0(VALU_DEP_1) | instskip(NEXT) | instid1(VALU_DEP_1)
	v_fma_f32 v2, -v2, v4, v5
	v_div_fmas_f32 v2, v2, v3, v4
	s_delay_alu instid0(VALU_DEP_1) | instskip(SKIP_1) | instid1(VALU_DEP_1)
	v_div_fixup_f32 v1, v2, v1, v12
	s_waitcnt lgkmcnt(0)
	v_add_f32_e32 v1, s4, v1
	s_delay_alu instid0(VALU_DEP_1) | instskip(SKIP_1) | instid1(VALU_DEP_2)
	v_mul_f32_e32 v2, 0x4b800000, v1
	v_cmp_gt_f32_e32 vcc_lo, 0x800000, v1
	v_cndmask_b32_e32 v1, v1, v2, vcc_lo
	s_delay_alu instid0(VALU_DEP_1) | instskip(SKIP_2) | instid1(VALU_DEP_1)
	v_rsq_f32_e32 v1, v1
	s_waitcnt_depctr 0xfff
	v_mul_f32_e32 v2, 0x45800000, v1
	v_dual_cndmask_b32 v1, v1, v2 :: v_dual_mov_b32 v2, 0
	ds_store_b32 v2, v1 offset:128
.LBB17_29:
	s_or_b32 exec_lo, exec_lo, s2
	s_ashr_i32 s2, s3, 31
	s_waitcnt lgkmcnt(0)
	s_lshr_b32 s2, s2, 30
	s_barrier
	s_add_i32 s2, s3, s2
	buffer_gl0_inv
	s_ashr_i32 s4, s2, 2
	s_mov_b32 s2, exec_lo
	v_cmpx_gt_i32_e64 s4, v0
	s_cbranch_execz .LBB17_32
; %bb.30:
	v_dual_mov_b32 v1, 0 :: v_dual_lshlrev_b32 v2, 4, v0
	s_clause 0x1
	s_load_b64 s[6:7], s[0:1], 0x0
	s_load_b64 s[0:1], s[0:1], 0x38
	s_mul_i32 s2, s15, s3
	s_mov_b32 s3, 0
	ds_load_b32 v1, v1 offset:128
	s_lshl_b64 s[8:9], s[2:3], 2
	s_waitcnt lgkmcnt(0)
	s_add_u32 s2, s6, s8
	s_addc_u32 s5, s7, s9
	s_lshl_b32 s6, s14, 4
	s_set_inst_prefetch_distance 0x1
	.p2align	6
.LBB17_31:                              ; =>This Inner Loop Header: Depth=1
	v_add_co_u32 v3, s7, s12, v2
	s_delay_alu instid0(VALU_DEP_1) | instskip(SKIP_1) | instid1(VALU_DEP_1)
	v_add_co_ci_u32_e64 v4, null, s13, 0, s7
	v_add_co_u32 v7, s7, s0, v2
	v_add_co_ci_u32_e64 v8, null, s1, 0, s7
	global_load_b128 v[3:6], v[3:4], off
	global_load_b128 v[7:10], v[7:8], off
	v_add_nc_u32_e32 v0, s14, v0
	v_add_co_u32 v11, s7, s2, v2
	s_add_u32 s2, s2, s6
	v_add_co_ci_u32_e64 v12, null, s5, 0, s7
	s_addc_u32 s5, s5, 0
	s_add_u32 s12, s12, s6
	s_addc_u32 s13, s13, 0
	s_add_u32 s0, s0, s6
	s_addc_u32 s1, s1, 0
	s_waitcnt vmcnt(1)
	v_mul_f32_e32 v3, v3, v1
	v_mul_f32_e32 v4, v4, v1
	;; [unrolled: 1-line block ×3, first 2 shown]
	v_cmp_le_i32_e32 vcc_lo, s4, v0
	s_waitcnt vmcnt(0)
	v_mul_f32_e32 v3, v3, v7
	v_dual_mul_f32 v5, v5, v1 :: v_dual_mul_f32 v4, v4, v8
	v_mul_f32_e32 v6, v6, v10
	s_or_b32 s3, vcc_lo, s3
	s_delay_alu instid0(VALU_DEP_2)
	v_mul_f32_e32 v5, v5, v9
	global_store_b128 v[11:12], v[3:6], off
	s_and_not1_b32 exec_lo, exec_lo, s3
	s_cbranch_execnz .LBB17_31
.LBB17_32:
	s_set_inst_prefetch_distance 0x2
	s_nop 0
	s_sendmsg sendmsg(MSG_DEALLOC_VGPRS)
	s_endpgm
.LBB17_33:
                                        ; implicit-def: $sgpr10_sgpr11
	s_branch .LBB17_2
	.section	.rodata,"a",@progbits
	.p2align	6, 0x0
	.amdhsa_kernel _ZN4vllm15rms_norm_kernelIfLi4ELi3EEEvPT_PKS1_lllllS4_fii
		.amdhsa_group_segment_fixed_size 132
		.amdhsa_private_segment_fixed_size 0
		.amdhsa_kernarg_size 336
		.amdhsa_user_sgpr_count 15
		.amdhsa_user_sgpr_dispatch_ptr 0
		.amdhsa_user_sgpr_queue_ptr 0
		.amdhsa_user_sgpr_kernarg_segment_ptr 1
		.amdhsa_user_sgpr_dispatch_id 0
		.amdhsa_user_sgpr_private_segment_size 0
		.amdhsa_wavefront_size32 1
		.amdhsa_uses_dynamic_stack 0
		.amdhsa_enable_private_segment 0
		.amdhsa_system_sgpr_workgroup_id_x 1
		.amdhsa_system_sgpr_workgroup_id_y 0
		.amdhsa_system_sgpr_workgroup_id_z 0
		.amdhsa_system_sgpr_workgroup_info 0
		.amdhsa_system_vgpr_workitem_id 0
		.amdhsa_next_free_vgpr 15
		.amdhsa_next_free_sgpr 22
		.amdhsa_reserve_vcc 1
		.amdhsa_float_round_mode_32 0
		.amdhsa_float_round_mode_16_64 0
		.amdhsa_float_denorm_mode_32 3
		.amdhsa_float_denorm_mode_16_64 3
		.amdhsa_dx10_clamp 1
		.amdhsa_ieee_mode 1
		.amdhsa_fp16_overflow 0
		.amdhsa_workgroup_processor_mode 1
		.amdhsa_memory_ordered 1
		.amdhsa_forward_progress 0
		.amdhsa_shared_vgpr_count 0
		.amdhsa_exception_fp_ieee_invalid_op 0
		.amdhsa_exception_fp_denorm_src 0
		.amdhsa_exception_fp_ieee_div_zero 0
		.amdhsa_exception_fp_ieee_overflow 0
		.amdhsa_exception_fp_ieee_underflow 0
		.amdhsa_exception_fp_ieee_inexact 0
		.amdhsa_exception_int_div_zero 0
	.end_amdhsa_kernel
	.section	.text._ZN4vllm15rms_norm_kernelIfLi4ELi3EEEvPT_PKS1_lllllS4_fii,"axG",@progbits,_ZN4vllm15rms_norm_kernelIfLi4ELi3EEEvPT_PKS1_lllllS4_fii,comdat
.Lfunc_end17:
	.size	_ZN4vllm15rms_norm_kernelIfLi4ELi3EEEvPT_PKS1_lllllS4_fii, .Lfunc_end17-_ZN4vllm15rms_norm_kernelIfLi4ELi3EEEvPT_PKS1_lllllS4_fii
                                        ; -- End function
	.section	.AMDGPU.csdata,"",@progbits
; Kernel info:
; codeLenInByte = 2684
; NumSgprs: 24
; NumVgprs: 15
; ScratchSize: 0
; MemoryBound: 0
; FloatMode: 240
; IeeeMode: 1
; LDSByteSize: 132 bytes/workgroup (compile time only)
; SGPRBlocks: 2
; VGPRBlocks: 1
; NumSGPRsForWavesPerEU: 24
; NumVGPRsForWavesPerEU: 15
; Occupancy: 16
; WaveLimiterHint : 0
; COMPUTE_PGM_RSRC2:SCRATCH_EN: 0
; COMPUTE_PGM_RSRC2:USER_SGPR: 15
; COMPUTE_PGM_RSRC2:TRAP_HANDLER: 0
; COMPUTE_PGM_RSRC2:TGID_X_EN: 1
; COMPUTE_PGM_RSRC2:TGID_Y_EN: 0
; COMPUTE_PGM_RSRC2:TGID_Z_EN: 0
; COMPUTE_PGM_RSRC2:TIDIG_COMP_CNT: 0
	.section	.text._ZN4vllm15rms_norm_kernelIfLi2ELi3EEEvPT_PKS1_lllllS4_fii,"axG",@progbits,_ZN4vllm15rms_norm_kernelIfLi2ELi3EEEvPT_PKS1_lllllS4_fii,comdat
	.protected	_ZN4vllm15rms_norm_kernelIfLi2ELi3EEEvPT_PKS1_lllllS4_fii ; -- Begin function _ZN4vllm15rms_norm_kernelIfLi2ELi3EEEvPT_PKS1_lllllS4_fii
	.globl	_ZN4vllm15rms_norm_kernelIfLi2ELi3EEEvPT_PKS1_lllllS4_fii
	.p2align	8
	.type	_ZN4vllm15rms_norm_kernelIfLi2ELi3EEEvPT_PKS1_lllllS4_fii,@function
_ZN4vllm15rms_norm_kernelIfLi2ELi3EEEvPT_PKS1_lllllS4_fii: ; @_ZN4vllm15rms_norm_kernelIfLi2ELi3EEEvPT_PKS1_lllllS4_fii
; %bb.0:
	s_clause 0x1
	s_load_b64 s[2:3], s[0:1], 0x28
	s_load_b64 s[4:5], s[0:1], 0x8
	s_mov_b32 s6, 0
	s_waitcnt lgkmcnt(0)
	s_mov_b32 s7, s3
	s_delay_alu instid0(SALU_CYCLE_1)
	s_cmp_lg_u64 s[6:7], 0
	s_cbranch_scc0 .LBB18_32
; %bb.1:
	s_ashr_i32 s8, s3, 31
	s_delay_alu instid0(SALU_CYCLE_1) | instskip(SKIP_2) | instid1(SALU_CYCLE_1)
	s_add_u32 s10, s2, s8
	s_mov_b32 s9, s8
	s_addc_u32 s11, s3, s8
	s_xor_b64 s[10:11], s[10:11], s[8:9]
	s_delay_alu instid0(SALU_CYCLE_1) | instskip(SKIP_3) | instid1(VALU_DEP_1)
	v_cvt_f32_u32_e32 v1, s10
	v_cvt_f32_u32_e32 v2, s11
	s_sub_u32 s12, 0, s10
	s_subb_u32 s13, 0, s11
	v_fmamk_f32 v1, v2, 0x4f800000, v1
	s_delay_alu instid0(VALU_DEP_1) | instskip(SKIP_2) | instid1(VALU_DEP_1)
	v_rcp_f32_e32 v1, v1
	s_waitcnt_depctr 0xfff
	v_mul_f32_e32 v1, 0x5f7ffffc, v1
	v_mul_f32_e32 v2, 0x2f800000, v1
	s_delay_alu instid0(VALU_DEP_1) | instskip(NEXT) | instid1(VALU_DEP_1)
	v_trunc_f32_e32 v2, v2
	v_fmamk_f32 v1, v2, 0xcf800000, v1
	v_cvt_u32_f32_e32 v2, v2
	s_delay_alu instid0(VALU_DEP_2) | instskip(NEXT) | instid1(VALU_DEP_2)
	v_cvt_u32_f32_e32 v1, v1
	v_readfirstlane_b32 s3, v2
	s_delay_alu instid0(VALU_DEP_2) | instskip(NEXT) | instid1(VALU_DEP_2)
	v_readfirstlane_b32 s7, v1
	s_mul_i32 s14, s12, s3
	s_delay_alu instid0(VALU_DEP_1)
	s_mul_hi_u32 s17, s12, s7
	s_mul_i32 s16, s13, s7
	s_add_i32 s14, s17, s14
	s_mul_i32 s18, s12, s7
	s_add_i32 s14, s14, s16
	s_mul_hi_u32 s17, s7, s18
	s_mul_hi_u32 s19, s3, s18
	s_mul_i32 s16, s3, s18
	s_mul_hi_u32 s18, s7, s14
	s_mul_i32 s7, s7, s14
	s_mul_hi_u32 s20, s3, s14
	s_add_u32 s7, s17, s7
	s_addc_u32 s17, 0, s18
	s_add_u32 s7, s7, s16
	s_mul_i32 s14, s3, s14
	s_addc_u32 s7, s17, s19
	s_addc_u32 s16, s20, 0
	s_add_u32 s7, s7, s14
	s_addc_u32 s14, 0, s16
	v_add_co_u32 v1, s7, v1, s7
	s_delay_alu instid0(VALU_DEP_1) | instskip(SKIP_1) | instid1(VALU_DEP_1)
	s_cmp_lg_u32 s7, 0
	s_addc_u32 s3, s3, s14
	v_readfirstlane_b32 s7, v1
	s_mul_i32 s14, s12, s3
	s_delay_alu instid0(VALU_DEP_1)
	s_mul_hi_u32 s16, s12, s7
	s_mul_i32 s13, s13, s7
	s_add_i32 s14, s16, s14
	s_mul_i32 s12, s12, s7
	s_add_i32 s14, s14, s13
	s_mul_hi_u32 s16, s3, s12
	s_mul_i32 s17, s3, s12
	s_mul_hi_u32 s12, s7, s12
	s_mul_hi_u32 s18, s7, s14
	s_mul_i32 s7, s7, s14
	s_mul_hi_u32 s13, s3, s14
	s_add_u32 s7, s12, s7
	s_addc_u32 s12, 0, s18
	s_add_u32 s7, s7, s17
	s_mul_i32 s14, s3, s14
	s_addc_u32 s7, s12, s16
	s_addc_u32 s12, s13, 0
	s_add_u32 s7, s7, s14
	s_addc_u32 s12, 0, s12
	v_add_co_u32 v1, s7, v1, s7
	s_delay_alu instid0(VALU_DEP_1) | instskip(SKIP_1) | instid1(VALU_DEP_1)
	s_cmp_lg_u32 s7, 0
	s_addc_u32 s3, s3, s12
	v_readfirstlane_b32 s7, v1
	s_mul_i32 s12, s15, s3
	s_mul_hi_u32 s3, s15, s3
	s_delay_alu instid0(VALU_DEP_1) | instskip(NEXT) | instid1(SALU_CYCLE_1)
	s_mul_hi_u32 s7, s15, s7
	s_add_u32 s7, s7, s12
	s_addc_u32 s3, 0, s3
	s_add_u32 s7, s7, 0
	s_addc_u32 s3, s3, 0
	s_addc_u32 s7, 0, 0
	s_add_u32 s3, s3, 0
	s_addc_u32 s7, 0, s7
	s_mul_hi_u32 s12, s10, s3
	s_mul_i32 s14, s10, s7
	s_mul_i32 s16, s10, s3
	s_add_i32 s12, s12, s14
	v_sub_co_u32 v1, s14, s15, s16
	s_mul_i32 s13, s11, s3
	s_delay_alu instid0(SALU_CYCLE_1) | instskip(NEXT) | instid1(VALU_DEP_1)
	s_add_i32 s12, s12, s13
	v_sub_co_u32 v2, s16, v1, s10
	s_sub_i32 s13, 0, s12
	s_cmp_lg_u32 s14, 0
	s_subb_u32 s13, s13, s11
	s_cmp_lg_u32 s16, 0
	v_readfirstlane_b32 s16, v2
	s_subb_u32 s13, s13, 0
	s_delay_alu instid0(SALU_CYCLE_1) | instskip(SKIP_1) | instid1(VALU_DEP_1)
	s_cmp_ge_u32 s13, s11
	s_cselect_b32 s17, -1, 0
	s_cmp_ge_u32 s16, s10
	s_cselect_b32 s16, -1, 0
	s_cmp_eq_u32 s13, s11
	s_cselect_b32 s13, s16, s17
	s_add_u32 s16, s3, 1
	s_addc_u32 s17, s7, 0
	s_add_u32 s18, s3, 2
	s_addc_u32 s19, s7, 0
	s_cmp_lg_u32 s13, 0
	s_cselect_b32 s13, s18, s16
	s_cselect_b32 s16, s19, s17
	s_cmp_lg_u32 s14, 0
	v_readfirstlane_b32 s14, v1
	s_subb_u32 s12, 0, s12
	s_delay_alu instid0(SALU_CYCLE_1) | instskip(SKIP_1) | instid1(VALU_DEP_1)
	s_cmp_ge_u32 s12, s11
	s_cselect_b32 s17, -1, 0
	s_cmp_ge_u32 s14, s10
	s_cselect_b32 s10, -1, 0
	s_cmp_eq_u32 s12, s11
	s_cselect_b32 s10, s10, s17
	s_delay_alu instid0(SALU_CYCLE_1) | instskip(SKIP_2) | instid1(SALU_CYCLE_1)
	s_cmp_lg_u32 s10, 0
	s_cselect_b32 s11, s16, s7
	s_cselect_b32 s10, s13, s3
	s_xor_b64 s[10:11], s[10:11], s[8:9]
	s_delay_alu instid0(SALU_CYCLE_1)
	s_sub_u32 s10, s10, s8
	s_subb_u32 s11, s11, s8
	s_and_not1_b32 vcc_lo, exec_lo, s6
	s_cbranch_vccnz .LBB18_3
.LBB18_2:
	v_cvt_f32_u32_e32 v1, s2
	s_sub_i32 s6, 0, s2
	s_mov_b32 s11, 0
	s_delay_alu instid0(VALU_DEP_1) | instskip(SKIP_2) | instid1(VALU_DEP_1)
	v_rcp_iflag_f32_e32 v1, v1
	s_waitcnt_depctr 0xfff
	v_mul_f32_e32 v1, 0x4f7ffffe, v1
	v_cvt_u32_f32_e32 v1, v1
	s_delay_alu instid0(VALU_DEP_1) | instskip(NEXT) | instid1(VALU_DEP_1)
	v_readfirstlane_b32 s3, v1
	s_mul_i32 s6, s6, s3
	s_delay_alu instid0(SALU_CYCLE_1) | instskip(NEXT) | instid1(SALU_CYCLE_1)
	s_mul_hi_u32 s6, s3, s6
	s_add_i32 s3, s3, s6
	s_delay_alu instid0(SALU_CYCLE_1) | instskip(NEXT) | instid1(SALU_CYCLE_1)
	s_mul_hi_u32 s3, s15, s3
	s_mul_i32 s6, s3, s2
	s_add_i32 s7, s3, 1
	s_sub_i32 s6, s15, s6
	s_delay_alu instid0(SALU_CYCLE_1)
	s_sub_i32 s8, s6, s2
	s_cmp_ge_u32 s6, s2
	s_cselect_b32 s3, s7, s3
	s_cselect_b32 s6, s8, s6
	s_add_i32 s7, s3, 1
	s_cmp_ge_u32 s6, s2
	s_cselect_b32 s10, s7, s3
.LBB18_3:
	s_load_b128 s[16:19], s[0:1], 0x10
	s_mul_i32 s6, s10, s2
	s_bfe_i64 s[2:3], s[10:11], 0x200000
	s_clause 0x1
	s_load_b32 s13, s[0:1], 0x48
	s_load_b32 s12, s[0:1], 0x5c
	s_sub_i32 s8, s15, s6
	s_mov_b32 s11, 0
	s_waitcnt lgkmcnt(0)
	s_mul_i32 s2, s10, s19
	s_mul_hi_u32 s6, s10, s18
	s_mul_i32 s3, s3, s18
	s_add_i32 s6, s6, s2
	s_mul_i32 s2, s10, s18
	s_add_i32 s3, s6, s3
	s_mul_i32 s9, s8, s17
	s_lshl_b64 s[6:7], s[2:3], 2
	s_mul_hi_u32 s2, s8, s16
	s_add_u32 s10, s4, s6
	s_addc_u32 s14, s5, s7
	s_ashr_i32 s3, s8, 31
	s_add_i32 s9, s2, s9
	s_mul_i32 s3, s3, s16
	s_mul_i32 s2, s8, s16
	s_add_i32 s3, s9, s3
	s_delay_alu instid0(SALU_CYCLE_1) | instskip(NEXT) | instid1(SALU_CYCLE_1)
	s_lshl_b64 s[8:9], s[2:3], 2
	s_add_u32 s2, s10, s8
	s_addc_u32 s3, s14, s9
	s_and_b32 s10, s2, 7
	s_and_b32 s12, s12, 0xffff
	s_cmp_lg_u64 s[10:11], 0
	s_cselect_b32 s10, -1, 0
	s_bitcmp1_b32 s13, 0
	s_cselect_b32 s11, -1, 0
	s_delay_alu instid0(SALU_CYCLE_1) | instskip(NEXT) | instid1(SALU_CYCLE_1)
	s_or_b32 s10, s11, s10
	s_and_b32 vcc_lo, exec_lo, s10
	s_cbranch_vccz .LBB18_16
; %bb.4:
	s_sub_i32 s10, 0, s2
	v_mov_b32_e32 v4, 0
	s_bfe_u32 s10, s10, 0x10002
	s_mov_b32 s11, exec_lo
	s_min_i32 s10, s10, s13
	s_delay_alu instid0(SALU_CYCLE_1)
	v_cmpx_gt_i32_e64 s10, v0
	s_cbranch_execz .LBB18_7
; %bb.5:
	v_mov_b32_e32 v4, 0
	s_lshl_b32 s14, s12, 2
	s_mov_b32 s16, 0
.LBB18_6:                               ; =>This Inner Loop Header: Depth=1
	s_load_b32 s17, s[2:3], 0x0
	s_add_i32 s16, s16, s12
	s_add_u32 s2, s2, s14
	s_addc_u32 s3, s3, 0
	s_cmp_ge_i32 s16, s10
	s_waitcnt lgkmcnt(0)
	v_fmac_f32_e64 v4, s17, s17
	s_cbranch_scc0 .LBB18_6
.LBB18_7:
	s_or_b32 exec_lo, exec_lo, s11
	s_sub_i32 s3, s13, s10
	s_ashr_i32 s11, s10, 31
	s_lshr_b32 s2, s3, 31
	s_mov_b32 s16, exec_lo
	s_add_i32 s2, s3, s2
	s_delay_alu instid0(SALU_CYCLE_1) | instskip(NEXT) | instid1(SALU_CYCLE_1)
	s_ashr_i32 s14, s2, 1
	v_cmpx_gt_i32_e64 s14, v0
	s_cbranch_execz .LBB18_11
; %bb.8:
	s_add_u32 s2, s8, s6
	s_addc_u32 s17, s9, s7
	s_lshl_b64 s[18:19], s[10:11], 2
	v_lshlrev_b32_e32 v1, 3, v0
	s_add_u32 s18, s4, s18
	s_addc_u32 s19, s5, s19
	s_add_u32 s2, s18, s2
	s_addc_u32 s17, s19, s17
	v_add_co_u32 v1, s2, s2, v1
	s_delay_alu instid0(VALU_DEP_1) | instskip(SKIP_1) | instid1(VALU_DEP_3)
	v_add_co_ci_u32_e64 v2, null, s17, 0, s2
	v_mov_b32_e32 v3, v0
	v_add_co_u32 v1, vcc_lo, v1, 4
	s_delay_alu instid0(VALU_DEP_3)
	v_add_co_ci_u32_e32 v2, vcc_lo, 0, v2, vcc_lo
	s_mov_b32 s17, 0
	s_lshl_b32 s18, s12, 3
.LBB18_9:                               ; =>This Inner Loop Header: Depth=1
	global_load_b64 v[5:6], v[1:2], off offset:-4
	v_add_nc_u32_e32 v3, s12, v3
	v_add_co_u32 v1, vcc_lo, v1, s18
	v_add_co_ci_u32_e32 v2, vcc_lo, 0, v2, vcc_lo
	s_waitcnt vmcnt(0)
	v_fmac_f32_e32 v4, v5, v5
	v_cmp_le_i32_e64 s2, s14, v3
	s_delay_alu instid0(VALU_DEP_2) | instskip(NEXT) | instid1(VALU_DEP_2)
	v_fmac_f32_e32 v4, v6, v6
	s_or_b32 s17, s2, s17
	s_delay_alu instid0(SALU_CYCLE_1)
	s_and_not1_b32 exec_lo, exec_lo, s17
	s_cbranch_execnz .LBB18_9
; %bb.10:
	s_or_b32 exec_lo, exec_lo, s17
.LBB18_11:
	s_delay_alu instid0(SALU_CYCLE_1) | instskip(SKIP_2) | instid1(VALU_DEP_1)
	s_or_b32 exec_lo, exec_lo, s16
	v_lshl_add_u32 v1, s14, 1, v0
	s_mov_b32 s14, exec_lo
	v_cmpx_gt_i32_e64 s3, v1
	s_cbranch_execz .LBB18_15
; %bb.12:
	v_ashrrev_i32_e32 v2, 31, v1
	s_add_u32 s2, s8, s6
	s_addc_u32 s16, s9, s7
	s_lshl_b64 s[10:11], s[10:11], 2
	s_delay_alu instid0(SALU_CYCLE_1)
	s_add_u32 s2, s2, s10
	v_lshlrev_b64 v[2:3], 2, v[1:2]
	s_addc_u32 s10, s16, s11
	s_add_u32 s2, s4, s2
	s_addc_u32 s10, s5, s10
	s_lshl_b32 s11, s12, 2
	s_delay_alu instid0(VALU_DEP_1)
	v_add_co_u32 v2, vcc_lo, s2, v2
	v_add_co_ci_u32_e32 v3, vcc_lo, s10, v3, vcc_lo
	s_mov_b32 s10, 0
.LBB18_13:                              ; =>This Inner Loop Header: Depth=1
	global_load_b32 v5, v[2:3], off
	v_add_nc_u32_e32 v1, s12, v1
	v_add_co_u32 v2, vcc_lo, v2, s11
	v_add_co_ci_u32_e32 v3, vcc_lo, 0, v3, vcc_lo
	s_delay_alu instid0(VALU_DEP_3) | instskip(NEXT) | instid1(VALU_DEP_1)
	v_cmp_le_i32_e64 s2, s3, v1
	s_or_b32 s10, s2, s10
	s_waitcnt vmcnt(0)
	v_fmac_f32_e32 v4, v5, v5
	s_and_not1_b32 exec_lo, exec_lo, s10
	s_cbranch_execnz .LBB18_13
; %bb.14:
	s_or_b32 exec_lo, exec_lo, s10
.LBB18_15:
	s_delay_alu instid0(SALU_CYCLE_1)
	s_or_b32 exec_lo, exec_lo, s14
	s_branch .LBB18_22
.LBB18_16:
                                        ; implicit-def: $vgpr4
	s_cbranch_execz .LBB18_22
; %bb.17:
	v_mov_b32_e32 v4, 0
	s_ashr_i32 s10, s13, 1
	s_mov_b32 s3, exec_lo
	v_cmpx_gt_i32_e64 s10, v0
	s_cbranch_execz .LBB18_21
; %bb.18:
	v_dual_mov_b32 v4, 0 :: v_dual_lshlrev_b32 v1, 3, v0
	s_add_u32 s2, s8, s6
	s_addc_u32 s11, s9, s7
	s_add_u32 s2, s4, s2
	s_addc_u32 s11, s5, s11
	v_add_co_u32 v1, s2, s2, v1
	s_delay_alu instid0(VALU_DEP_1) | instskip(SKIP_1) | instid1(VALU_DEP_3)
	v_add_co_ci_u32_e64 v2, null, s11, 0, s2
	v_mov_b32_e32 v3, v0
	v_add_co_u32 v1, vcc_lo, v1, 4
	s_delay_alu instid0(VALU_DEP_3)
	v_add_co_ci_u32_e32 v2, vcc_lo, 0, v2, vcc_lo
	s_mov_b32 s11, 0
	s_lshl_b32 s14, s12, 3
.LBB18_19:                              ; =>This Inner Loop Header: Depth=1
	global_load_b64 v[5:6], v[1:2], off offset:-4
	v_add_nc_u32_e32 v3, s12, v3
	v_add_co_u32 v1, vcc_lo, v1, s14
	v_add_co_ci_u32_e32 v2, vcc_lo, 0, v2, vcc_lo
	s_waitcnt vmcnt(0)
	v_fmac_f32_e32 v4, v5, v5
	v_cmp_le_i32_e64 s2, s10, v3
	s_delay_alu instid0(VALU_DEP_2) | instskip(NEXT) | instid1(VALU_DEP_2)
	v_fmac_f32_e32 v4, v6, v6
	s_or_b32 s11, s2, s11
	s_delay_alu instid0(SALU_CYCLE_1)
	s_and_not1_b32 exec_lo, exec_lo, s11
	s_cbranch_execnz .LBB18_19
; %bb.20:
	s_or_b32 exec_lo, exec_lo, s11
.LBB18_21:
	s_delay_alu instid0(SALU_CYCLE_1)
	s_or_b32 exec_lo, exec_lo, s3
.LBB18_22:
	v_mbcnt_lo_u32_b32 v1, -1, 0
	v_and_b32_e32 v3, 0x3e0, v0
	s_mov_b32 s2, exec_lo
	s_delay_alu instid0(VALU_DEP_2) | instskip(NEXT) | instid1(VALU_DEP_2)
	v_cmp_ne_u32_e32 vcc_lo, 31, v1
	v_sub_nc_u32_e64 v12, s12, v3 clamp
	v_add_nc_u32_e32 v3, 1, v1
	v_add_co_ci_u32_e32 v2, vcc_lo, 0, v1, vcc_lo
	v_cmp_gt_u32_e32 vcc_lo, 30, v1
	s_delay_alu instid0(VALU_DEP_2)
	v_lshlrev_b32_e32 v2, 2, v2
	v_cndmask_b32_e64 v6, 0, 1, vcc_lo
	v_cmp_lt_u32_e32 vcc_lo, v3, v12
	ds_bpermute_b32 v5, v2, v4
	s_waitcnt lgkmcnt(0)
	v_dual_add_f32 v7, v4, v5 :: v_dual_lshlrev_b32 v6, 1, v6
	s_delay_alu instid0(VALU_DEP_1) | instskip(NEXT) | instid1(VALU_DEP_2)
	v_cndmask_b32_e32 v7, v4, v7, vcc_lo
	v_add_lshl_u32 v5, v6, v1, 2
	v_cmp_gt_u32_e32 vcc_lo, 28, v1
	ds_bpermute_b32 v6, v5, v7
	v_cndmask_b32_e64 v4, 0, 1, vcc_lo
	s_delay_alu instid0(VALU_DEP_1) | instskip(SKIP_1) | instid1(VALU_DEP_1)
	v_lshlrev_b32_e32 v8, 2, v4
	v_add_nc_u32_e32 v4, 2, v1
	v_cmp_lt_u32_e32 vcc_lo, v4, v12
	s_waitcnt lgkmcnt(0)
	v_add_f32_e32 v9, v7, v6
	v_add_lshl_u32 v6, v8, v1, 2
	s_delay_alu instid0(VALU_DEP_2) | instskip(SKIP_2) | instid1(VALU_DEP_1)
	v_cndmask_b32_e32 v9, v7, v9, vcc_lo
	v_cmp_gt_u32_e32 vcc_lo, 24, v1
	v_cndmask_b32_e64 v7, 0, 1, vcc_lo
	v_lshlrev_b32_e32 v10, 3, v7
	ds_bpermute_b32 v8, v6, v9
	v_add_nc_u32_e32 v7, 4, v1
	s_delay_alu instid0(VALU_DEP_1) | instskip(SKIP_3) | instid1(VALU_DEP_2)
	v_cmp_lt_u32_e32 vcc_lo, v7, v12
	s_waitcnt lgkmcnt(0)
	v_add_f32_e32 v11, v9, v8
	v_add_lshl_u32 v8, v10, v1, 2
	v_cndmask_b32_e32 v11, v9, v11, vcc_lo
	v_cmp_gt_u32_e32 vcc_lo, 16, v1
	ds_bpermute_b32 v10, v8, v11
	v_cndmask_b32_e64 v9, 0, 1, vcc_lo
	s_delay_alu instid0(VALU_DEP_1) | instskip(SKIP_1) | instid1(VALU_DEP_1)
	v_lshlrev_b32_e32 v13, 4, v9
	v_add_nc_u32_e32 v9, 8, v1
	v_cmp_lt_u32_e32 vcc_lo, v9, v12
	s_waitcnt lgkmcnt(0)
	v_add_f32_e32 v14, v11, v10
	v_add_lshl_u32 v10, v13, v1, 2
	s_delay_alu instid0(VALU_DEP_2)
	v_cndmask_b32_e32 v13, v11, v14, vcc_lo
	v_add_nc_u32_e32 v11, 16, v1
	ds_bpermute_b32 v14, v10, v13
	v_cmp_lt_u32_e32 vcc_lo, v11, v12
	s_waitcnt lgkmcnt(0)
	v_add_f32_e32 v14, v13, v14
	s_delay_alu instid0(VALU_DEP_1)
	v_cndmask_b32_e32 v12, v13, v14, vcc_lo
	v_cmpx_eq_u32_e32 0, v1
	s_cbranch_execz .LBB18_24
; %bb.23:
	v_lshrrev_b32_e32 v13, 3, v0
	s_delay_alu instid0(VALU_DEP_1)
	v_and_b32_e32 v13, 0x7c, v13
	ds_store_b32 v13, v12
.LBB18_24:
	s_or_b32 exec_lo, exec_lo, s2
	s_delay_alu instid0(SALU_CYCLE_1)
	s_mov_b32 s2, exec_lo
	s_waitcnt lgkmcnt(0)
	s_barrier
	buffer_gl0_inv
	v_cmpx_gt_u32_e32 32, v0
	s_cbranch_execz .LBB18_26
; %bb.25:
	v_lshlrev_b32_e32 v1, 2, v1
	s_add_i32 s3, s12, 31
	s_delay_alu instid0(SALU_CYCLE_1) | instskip(NEXT) | instid1(SALU_CYCLE_1)
	s_lshr_b32 s3, s3, 5
	v_cmp_gt_u32_e32 vcc_lo, s3, v3
	ds_load_b32 v1, v1
	s_waitcnt lgkmcnt(0)
	ds_bpermute_b32 v2, v2, v1
	s_waitcnt lgkmcnt(0)
	v_add_f32_e32 v2, v1, v2
	s_delay_alu instid0(VALU_DEP_1) | instskip(SKIP_4) | instid1(VALU_DEP_1)
	v_cndmask_b32_e32 v1, v1, v2, vcc_lo
	v_cmp_gt_u32_e32 vcc_lo, s3, v4
	ds_bpermute_b32 v2, v5, v1
	s_waitcnt lgkmcnt(0)
	v_add_f32_e32 v2, v1, v2
	v_cndmask_b32_e32 v1, v1, v2, vcc_lo
	v_cmp_gt_u32_e32 vcc_lo, s3, v7
	ds_bpermute_b32 v2, v6, v1
	s_waitcnt lgkmcnt(0)
	v_add_f32_e32 v2, v1, v2
	s_delay_alu instid0(VALU_DEP_1) | instskip(SKIP_4) | instid1(VALU_DEP_1)
	v_cndmask_b32_e32 v1, v1, v2, vcc_lo
	v_cmp_gt_u32_e32 vcc_lo, s3, v9
	ds_bpermute_b32 v2, v8, v1
	s_waitcnt lgkmcnt(0)
	v_add_f32_e32 v2, v1, v2
	v_cndmask_b32_e32 v1, v1, v2, vcc_lo
	v_cmp_gt_u32_e32 vcc_lo, s3, v11
	ds_bpermute_b32 v2, v10, v1
	s_waitcnt lgkmcnt(0)
	v_add_f32_e32 v2, v1, v2
	s_delay_alu instid0(VALU_DEP_1)
	v_cndmask_b32_e32 v12, v1, v2, vcc_lo
.LBB18_26:
	s_or_b32 exec_lo, exec_lo, s2
	s_delay_alu instid0(SALU_CYCLE_1)
	s_mov_b32 s2, exec_lo
	v_cmpx_eq_u32_e32 0, v0
	s_cbranch_execz .LBB18_28
; %bb.27:
	v_cvt_f32_i32_e32 v1, s13
	s_load_b32 s3, s[0:1], 0x40
	s_delay_alu instid0(VALU_DEP_1) | instskip(SKIP_1) | instid1(VALU_DEP_2)
	v_div_scale_f32 v2, null, v1, v1, v12
	v_div_scale_f32 v5, vcc_lo, v12, v1, v12
	v_rcp_f32_e32 v3, v2
	s_waitcnt_depctr 0xfff
	v_fma_f32 v4, -v2, v3, 1.0
	s_delay_alu instid0(VALU_DEP_1) | instskip(NEXT) | instid1(VALU_DEP_1)
	v_fmac_f32_e32 v3, v4, v3
	v_mul_f32_e32 v4, v5, v3
	s_delay_alu instid0(VALU_DEP_1) | instskip(NEXT) | instid1(VALU_DEP_1)
	v_fma_f32 v6, -v2, v4, v5
	v_fmac_f32_e32 v4, v6, v3
	s_delay_alu instid0(VALU_DEP_1) | instskip(NEXT) | instid1(VALU_DEP_1)
	v_fma_f32 v2, -v2, v4, v5
	v_div_fmas_f32 v2, v2, v3, v4
	s_delay_alu instid0(VALU_DEP_1) | instskip(SKIP_1) | instid1(VALU_DEP_1)
	v_div_fixup_f32 v1, v2, v1, v12
	s_waitcnt lgkmcnt(0)
	v_add_f32_e32 v1, s3, v1
	s_delay_alu instid0(VALU_DEP_1) | instskip(SKIP_1) | instid1(VALU_DEP_2)
	v_mul_f32_e32 v2, 0x4b800000, v1
	v_cmp_gt_f32_e32 vcc_lo, 0x800000, v1
	v_cndmask_b32_e32 v1, v1, v2, vcc_lo
	s_delay_alu instid0(VALU_DEP_1) | instskip(SKIP_2) | instid1(VALU_DEP_1)
	v_rsq_f32_e32 v1, v1
	s_waitcnt_depctr 0xfff
	v_mul_f32_e32 v2, 0x45800000, v1
	v_dual_cndmask_b32 v1, v1, v2 :: v_dual_mov_b32 v2, 0
	ds_store_b32 v2, v1 offset:128
.LBB18_28:
	s_or_b32 exec_lo, exec_lo, s2
	s_lshr_b32 s2, s13, 31
	s_waitcnt lgkmcnt(0)
	s_add_i32 s2, s13, s2
	s_barrier
	s_ashr_i32 s10, s2, 1
	buffer_gl0_inv
	s_mov_b32 s2, exec_lo
	v_cmpx_gt_i32_e64 s10, v0
	s_cbranch_execz .LBB18_31
; %bb.29:
	s_clause 0x1
	s_load_b64 s[2:3], s[0:1], 0x0
	s_load_b64 s[16:17], s[0:1], 0x38
	v_dual_mov_b32 v1, 0 :: v_dual_lshlrev_b32 v2, 3, v0
	s_mul_i32 s0, s15, s13
	s_mov_b32 s1, 0
	s_delay_alu instid0(SALU_CYCLE_1) | instskip(SKIP_4) | instid1(VALU_DEP_1)
	s_lshl_b64 s[14:15], s[0:1], 2
	ds_load_b32 v1, v1 offset:128
	s_waitcnt lgkmcnt(0)
	s_add_u32 s2, s2, s14
	v_add_co_u32 v6, s0, v2, s16
	v_add_co_ci_u32_e64 v7, null, 0, s17, s0
	s_addc_u32 s3, s3, s15
	s_lshl_b32 s0, s12, 3
	s_add_u32 s6, s8, s6
	s_addc_u32 s7, s9, s7
	s_add_u32 s4, s4, s6
	s_addc_u32 s5, s5, s7
	v_add_co_u32 v4, s4, s4, v2
	s_delay_alu instid0(VALU_DEP_1) | instskip(SKIP_1) | instid1(VALU_DEP_3)
	v_add_co_ci_u32_e64 v5, null, s5, 0, s4
	v_add_co_u32 v2, s2, s2, v2
	v_add_co_u32 v4, vcc_lo, v4, 4
	s_delay_alu instid0(VALU_DEP_3)
	v_add_co_ci_u32_e32 v5, vcc_lo, 0, v5, vcc_lo
	v_add_co_u32 v6, vcc_lo, v6, 4
	v_add_co_ci_u32_e64 v3, null, s3, 0, s2
	v_add_co_ci_u32_e32 v7, vcc_lo, 0, v7, vcc_lo
	s_mov_b64 s[2:3], 0
	.p2align	6
.LBB18_30:                              ; =>This Inner Loop Header: Depth=1
	s_delay_alu instid0(SALU_CYCLE_1)
	v_add_co_u32 v8, vcc_lo, v4, s2
	v_add_co_ci_u32_e32 v9, vcc_lo, s3, v5, vcc_lo
	v_add_co_u32 v10, vcc_lo, v6, s2
	v_add_co_ci_u32_e32 v11, vcc_lo, s3, v7, vcc_lo
	v_add_co_u32 v12, vcc_lo, v2, s2
	global_load_b64 v[8:9], v[8:9], off offset:-4
	global_load_b64 v[10:11], v[10:11], off offset:-4
	v_add_nc_u32_e32 v0, s12, v0
	v_add_co_ci_u32_e32 v13, vcc_lo, s3, v3, vcc_lo
	s_add_u32 s2, s2, s0
	s_addc_u32 s3, s3, 0
	s_waitcnt vmcnt(1)
	v_mul_f32_e32 v9, v9, v1
	v_mul_f32_e32 v8, v8, v1
	v_cmp_le_i32_e32 vcc_lo, s10, v0
	s_waitcnt vmcnt(0)
	s_delay_alu instid0(VALU_DEP_2)
	v_dual_mul_f32 v9, v9, v11 :: v_dual_mul_f32 v8, v8, v10
	s_or_b32 s1, vcc_lo, s1
	global_store_b64 v[12:13], v[8:9], off
	s_and_not1_b32 exec_lo, exec_lo, s1
	s_cbranch_execnz .LBB18_30
.LBB18_31:
	s_nop 0
	s_sendmsg sendmsg(MSG_DEALLOC_VGPRS)
	s_endpgm
.LBB18_32:
                                        ; implicit-def: $sgpr10_sgpr11
	s_branch .LBB18_2
	.section	.rodata,"a",@progbits
	.p2align	6, 0x0
	.amdhsa_kernel _ZN4vllm15rms_norm_kernelIfLi2ELi3EEEvPT_PKS1_lllllS4_fii
		.amdhsa_group_segment_fixed_size 132
		.amdhsa_private_segment_fixed_size 0
		.amdhsa_kernarg_size 336
		.amdhsa_user_sgpr_count 15
		.amdhsa_user_sgpr_dispatch_ptr 0
		.amdhsa_user_sgpr_queue_ptr 0
		.amdhsa_user_sgpr_kernarg_segment_ptr 1
		.amdhsa_user_sgpr_dispatch_id 0
		.amdhsa_user_sgpr_private_segment_size 0
		.amdhsa_wavefront_size32 1
		.amdhsa_uses_dynamic_stack 0
		.amdhsa_enable_private_segment 0
		.amdhsa_system_sgpr_workgroup_id_x 1
		.amdhsa_system_sgpr_workgroup_id_y 0
		.amdhsa_system_sgpr_workgroup_id_z 0
		.amdhsa_system_sgpr_workgroup_info 0
		.amdhsa_system_vgpr_workitem_id 0
		.amdhsa_next_free_vgpr 15
		.amdhsa_next_free_sgpr 21
		.amdhsa_reserve_vcc 1
		.amdhsa_float_round_mode_32 0
		.amdhsa_float_round_mode_16_64 0
		.amdhsa_float_denorm_mode_32 3
		.amdhsa_float_denorm_mode_16_64 3
		.amdhsa_dx10_clamp 1
		.amdhsa_ieee_mode 1
		.amdhsa_fp16_overflow 0
		.amdhsa_workgroup_processor_mode 1
		.amdhsa_memory_ordered 1
		.amdhsa_forward_progress 0
		.amdhsa_shared_vgpr_count 0
		.amdhsa_exception_fp_ieee_invalid_op 0
		.amdhsa_exception_fp_denorm_src 0
		.amdhsa_exception_fp_ieee_div_zero 0
		.amdhsa_exception_fp_ieee_overflow 0
		.amdhsa_exception_fp_ieee_underflow 0
		.amdhsa_exception_fp_ieee_inexact 0
		.amdhsa_exception_int_div_zero 0
	.end_amdhsa_kernel
	.section	.text._ZN4vllm15rms_norm_kernelIfLi2ELi3EEEvPT_PKS1_lllllS4_fii,"axG",@progbits,_ZN4vllm15rms_norm_kernelIfLi2ELi3EEEvPT_PKS1_lllllS4_fii,comdat
.Lfunc_end18:
	.size	_ZN4vllm15rms_norm_kernelIfLi2ELi3EEEvPT_PKS1_lllllS4_fii, .Lfunc_end18-_ZN4vllm15rms_norm_kernelIfLi2ELi3EEEvPT_PKS1_lllllS4_fii
                                        ; -- End function
	.section	.AMDGPU.csdata,"",@progbits
; Kernel info:
; codeLenInByte = 2636
; NumSgprs: 23
; NumVgprs: 15
; ScratchSize: 0
; MemoryBound: 0
; FloatMode: 240
; IeeeMode: 1
; LDSByteSize: 132 bytes/workgroup (compile time only)
; SGPRBlocks: 2
; VGPRBlocks: 1
; NumSGPRsForWavesPerEU: 23
; NumVGPRsForWavesPerEU: 15
; Occupancy: 16
; WaveLimiterHint : 0
; COMPUTE_PGM_RSRC2:SCRATCH_EN: 0
; COMPUTE_PGM_RSRC2:USER_SGPR: 15
; COMPUTE_PGM_RSRC2:TRAP_HANDLER: 0
; COMPUTE_PGM_RSRC2:TGID_X_EN: 1
; COMPUTE_PGM_RSRC2:TGID_Y_EN: 0
; COMPUTE_PGM_RSRC2:TGID_Z_EN: 0
; COMPUTE_PGM_RSRC2:TIDIG_COMP_CNT: 0
	.section	.text._ZN4vllm15rms_norm_kernelIfLi1ELi3EEEvPT_PKS1_lllllS4_fii,"axG",@progbits,_ZN4vllm15rms_norm_kernelIfLi1ELi3EEEvPT_PKS1_lllllS4_fii,comdat
	.protected	_ZN4vllm15rms_norm_kernelIfLi1ELi3EEEvPT_PKS1_lllllS4_fii ; -- Begin function _ZN4vllm15rms_norm_kernelIfLi1ELi3EEEvPT_PKS1_lllllS4_fii
	.globl	_ZN4vllm15rms_norm_kernelIfLi1ELi3EEEvPT_PKS1_lllllS4_fii
	.p2align	8
	.type	_ZN4vllm15rms_norm_kernelIfLi1ELi3EEEvPT_PKS1_lllllS4_fii,@function
_ZN4vllm15rms_norm_kernelIfLi1ELi3EEEvPT_PKS1_lllllS4_fii: ; @_ZN4vllm15rms_norm_kernelIfLi1ELi3EEEvPT_PKS1_lllllS4_fii
; %bb.0:
	s_clause 0x1
	s_load_b64 s[2:3], s[0:1], 0x28
	s_load_b64 s[4:5], s[0:1], 0x8
	s_mov_b32 s6, 0
	s_waitcnt lgkmcnt(0)
	s_mov_b32 s7, s3
	s_delay_alu instid0(SALU_CYCLE_1)
	s_cmp_lg_u64 s[6:7], 0
	s_cbranch_scc0 .LBB19_9
; %bb.1:
	s_ashr_i32 s8, s3, 31
	s_delay_alu instid0(SALU_CYCLE_1) | instskip(SKIP_2) | instid1(SALU_CYCLE_1)
	s_add_u32 s10, s2, s8
	s_mov_b32 s9, s8
	s_addc_u32 s11, s3, s8
	s_xor_b64 s[10:11], s[10:11], s[8:9]
	s_delay_alu instid0(SALU_CYCLE_1) | instskip(SKIP_3) | instid1(VALU_DEP_1)
	v_cvt_f32_u32_e32 v1, s10
	v_cvt_f32_u32_e32 v2, s11
	s_sub_u32 s12, 0, s10
	s_subb_u32 s13, 0, s11
	v_fmamk_f32 v1, v2, 0x4f800000, v1
	s_delay_alu instid0(VALU_DEP_1) | instskip(SKIP_2) | instid1(VALU_DEP_1)
	v_rcp_f32_e32 v1, v1
	s_waitcnt_depctr 0xfff
	v_mul_f32_e32 v1, 0x5f7ffffc, v1
	v_mul_f32_e32 v2, 0x2f800000, v1
	s_delay_alu instid0(VALU_DEP_1) | instskip(NEXT) | instid1(VALU_DEP_1)
	v_trunc_f32_e32 v2, v2
	v_fmamk_f32 v1, v2, 0xcf800000, v1
	v_cvt_u32_f32_e32 v2, v2
	s_delay_alu instid0(VALU_DEP_2) | instskip(NEXT) | instid1(VALU_DEP_2)
	v_cvt_u32_f32_e32 v1, v1
	v_readfirstlane_b32 s3, v2
	s_delay_alu instid0(VALU_DEP_2) | instskip(NEXT) | instid1(VALU_DEP_2)
	v_readfirstlane_b32 s7, v1
	s_mul_i32 s14, s12, s3
	s_delay_alu instid0(VALU_DEP_1)
	s_mul_hi_u32 s17, s12, s7
	s_mul_i32 s16, s13, s7
	s_add_i32 s14, s17, s14
	s_mul_i32 s18, s12, s7
	s_add_i32 s14, s14, s16
	s_mul_hi_u32 s17, s7, s18
	s_mul_hi_u32 s19, s3, s18
	s_mul_i32 s16, s3, s18
	s_mul_hi_u32 s18, s7, s14
	s_mul_i32 s7, s7, s14
	s_mul_hi_u32 s20, s3, s14
	s_add_u32 s7, s17, s7
	s_addc_u32 s17, 0, s18
	s_add_u32 s7, s7, s16
	s_mul_i32 s14, s3, s14
	s_addc_u32 s7, s17, s19
	s_addc_u32 s16, s20, 0
	s_add_u32 s7, s7, s14
	s_addc_u32 s14, 0, s16
	v_add_co_u32 v1, s7, v1, s7
	s_delay_alu instid0(VALU_DEP_1) | instskip(SKIP_1) | instid1(VALU_DEP_1)
	s_cmp_lg_u32 s7, 0
	s_addc_u32 s3, s3, s14
	v_readfirstlane_b32 s7, v1
	s_mul_i32 s14, s12, s3
	s_delay_alu instid0(VALU_DEP_1)
	s_mul_hi_u32 s16, s12, s7
	s_mul_i32 s13, s13, s7
	s_add_i32 s14, s16, s14
	s_mul_i32 s12, s12, s7
	s_add_i32 s14, s14, s13
	s_mul_hi_u32 s16, s3, s12
	s_mul_i32 s17, s3, s12
	s_mul_hi_u32 s12, s7, s12
	s_mul_hi_u32 s18, s7, s14
	s_mul_i32 s7, s7, s14
	s_mul_hi_u32 s13, s3, s14
	s_add_u32 s7, s12, s7
	s_addc_u32 s12, 0, s18
	s_add_u32 s7, s7, s17
	s_mul_i32 s14, s3, s14
	s_addc_u32 s7, s12, s16
	s_addc_u32 s12, s13, 0
	s_add_u32 s7, s7, s14
	s_addc_u32 s12, 0, s12
	v_add_co_u32 v1, s7, v1, s7
	s_delay_alu instid0(VALU_DEP_1) | instskip(SKIP_1) | instid1(VALU_DEP_1)
	s_cmp_lg_u32 s7, 0
	s_addc_u32 s3, s3, s12
	v_readfirstlane_b32 s7, v1
	s_mul_i32 s12, s15, s3
	s_mul_hi_u32 s3, s15, s3
	s_delay_alu instid0(VALU_DEP_1) | instskip(NEXT) | instid1(SALU_CYCLE_1)
	s_mul_hi_u32 s7, s15, s7
	s_add_u32 s7, s7, s12
	s_addc_u32 s3, 0, s3
	s_add_u32 s7, s7, 0
	s_addc_u32 s3, s3, 0
	s_addc_u32 s7, 0, 0
	s_add_u32 s3, s3, 0
	s_addc_u32 s7, 0, s7
	s_mul_hi_u32 s12, s10, s3
	s_mul_i32 s14, s10, s7
	s_mul_i32 s16, s10, s3
	s_add_i32 s12, s12, s14
	v_sub_co_u32 v1, s14, s15, s16
	s_mul_i32 s13, s11, s3
	s_delay_alu instid0(SALU_CYCLE_1) | instskip(NEXT) | instid1(VALU_DEP_1)
	s_add_i32 s12, s12, s13
	v_sub_co_u32 v2, s16, v1, s10
	s_sub_i32 s13, 0, s12
	s_cmp_lg_u32 s14, 0
	s_subb_u32 s13, s13, s11
	s_cmp_lg_u32 s16, 0
	v_readfirstlane_b32 s16, v2
	s_subb_u32 s13, s13, 0
	s_delay_alu instid0(SALU_CYCLE_1) | instskip(SKIP_1) | instid1(VALU_DEP_1)
	s_cmp_ge_u32 s13, s11
	s_cselect_b32 s17, -1, 0
	s_cmp_ge_u32 s16, s10
	s_cselect_b32 s16, -1, 0
	s_cmp_eq_u32 s13, s11
	s_cselect_b32 s13, s16, s17
	s_add_u32 s16, s3, 1
	s_addc_u32 s17, s7, 0
	s_add_u32 s18, s3, 2
	s_addc_u32 s19, s7, 0
	s_cmp_lg_u32 s13, 0
	s_cselect_b32 s13, s18, s16
	s_cselect_b32 s16, s19, s17
	s_cmp_lg_u32 s14, 0
	v_readfirstlane_b32 s14, v1
	s_subb_u32 s12, 0, s12
	s_delay_alu instid0(SALU_CYCLE_1) | instskip(SKIP_1) | instid1(VALU_DEP_1)
	s_cmp_ge_u32 s12, s11
	s_cselect_b32 s17, -1, 0
	s_cmp_ge_u32 s14, s10
	s_cselect_b32 s10, -1, 0
	s_cmp_eq_u32 s12, s11
	s_cselect_b32 s10, s10, s17
	s_delay_alu instid0(SALU_CYCLE_1) | instskip(SKIP_2) | instid1(SALU_CYCLE_1)
	s_cmp_lg_u32 s10, 0
	s_cselect_b32 s11, s16, s7
	s_cselect_b32 s10, s13, s3
	s_xor_b64 s[10:11], s[10:11], s[8:9]
	s_delay_alu instid0(SALU_CYCLE_1)
	s_sub_u32 s10, s10, s8
	s_subb_u32 s11, s11, s8
	s_and_not1_b32 vcc_lo, exec_lo, s6
	s_cbranch_vccnz .LBB19_3
.LBB19_2:
	v_cvt_f32_u32_e32 v1, s2
	s_sub_i32 s6, 0, s2
	s_mov_b32 s11, 0
	s_delay_alu instid0(VALU_DEP_1) | instskip(SKIP_2) | instid1(VALU_DEP_1)
	v_rcp_iflag_f32_e32 v1, v1
	s_waitcnt_depctr 0xfff
	v_mul_f32_e32 v1, 0x4f7ffffe, v1
	v_cvt_u32_f32_e32 v1, v1
	s_delay_alu instid0(VALU_DEP_1) | instskip(NEXT) | instid1(VALU_DEP_1)
	v_readfirstlane_b32 s3, v1
	s_mul_i32 s6, s6, s3
	s_delay_alu instid0(SALU_CYCLE_1) | instskip(NEXT) | instid1(SALU_CYCLE_1)
	s_mul_hi_u32 s6, s3, s6
	s_add_i32 s3, s3, s6
	s_delay_alu instid0(SALU_CYCLE_1) | instskip(NEXT) | instid1(SALU_CYCLE_1)
	s_mul_hi_u32 s3, s15, s3
	s_mul_i32 s6, s3, s2
	s_add_i32 s7, s3, 1
	s_sub_i32 s6, s15, s6
	s_delay_alu instid0(SALU_CYCLE_1)
	s_sub_i32 s8, s6, s2
	s_cmp_ge_u32 s6, s2
	s_cselect_b32 s3, s7, s3
	s_cselect_b32 s6, s8, s6
	s_add_i32 s7, s3, 1
	s_cmp_ge_u32 s6, s2
	s_cselect_b32 s10, s7, s3
.LBB19_3:
	s_load_b128 s[16:19], s[0:1], 0x10
	s_mul_i32 s6, s10, s2
	s_bfe_i64 s[2:3], s[10:11], 0x200000
	s_clause 0x1
	s_load_b32 s11, s[0:1], 0x48
	s_load_b32 s13, s[0:1], 0x5c
	s_sub_i32 s8, s15, s6
	s_waitcnt lgkmcnt(0)
	s_mul_i32 s2, s10, s19
	s_mul_hi_u32 s6, s10, s18
	s_mul_i32 s3, s3, s18
	s_add_i32 s6, s6, s2
	s_mul_i32 s2, s10, s18
	s_add_i32 s3, s6, s3
	s_mul_i32 s9, s8, s17
	s_lshl_b64 s[6:7], s[2:3], 2
	s_mul_hi_u32 s2, s8, s16
	s_add_u32 s10, s4, s6
	s_addc_u32 s12, s5, s7
	s_ashr_i32 s3, s8, 31
	s_add_i32 s9, s2, s9
	s_mul_i32 s3, s3, s16
	s_mul_i32 s2, s8, s16
	s_add_i32 s3, s9, s3
	s_delay_alu instid0(SALU_CYCLE_1)
	s_lshl_b64 s[8:9], s[2:3], 2
	s_mov_b32 s3, 0
	s_add_u32 s10, s10, s8
	s_addc_u32 s12, s12, s9
	s_and_b32 s2, s10, 3
	s_and_b32 s13, s13, 0xffff
	s_cmp_lg_u64 s[2:3], 0
	s_cbranch_scc0 .LBB19_10
; %bb.4:
	v_mov_b32_e32 v3, 0
	s_min_i32 s2, s11, 0
	s_mov_b32 s14, exec_lo
	s_sub_i32 s16, s11, s2
	s_delay_alu instid0(SALU_CYCLE_1)
	v_cmpx_gt_i32_e64 s16, v0
	s_cbranch_execz .LBB19_8
; %bb.5:
	s_ashr_i32 s3, s2, 31
	s_add_u32 s17, s8, s6
	s_addc_u32 s18, s9, s7
	s_lshl_b64 s[2:3], s[2:3], 2
	v_dual_mov_b32 v4, v0 :: v_dual_lshlrev_b32 v1, 2, v0
	s_add_u32 s2, s17, s2
	s_addc_u32 s3, s18, s3
	s_add_u32 s2, s4, s2
	s_addc_u32 s3, s5, s3
	v_add_co_u32 v1, s2, s2, v1
	s_delay_alu instid0(VALU_DEP_1)
	v_add_co_ci_u32_e64 v2, null, s3, 0, s2
	v_mov_b32_e32 v3, 0
	s_mov_b32 s3, 0
	s_lshl_b32 s17, s13, 2
.LBB19_6:                               ; =>This Inner Loop Header: Depth=1
	global_load_b32 v5, v[1:2], off
	v_add_nc_u32_e32 v4, s13, v4
	v_add_co_u32 v1, vcc_lo, v1, s17
	v_add_co_ci_u32_e32 v2, vcc_lo, 0, v2, vcc_lo
	s_waitcnt vmcnt(0)
	v_fmac_f32_e32 v3, v5, v5
	v_cmp_le_i32_e64 s2, s16, v4
	s_delay_alu instid0(VALU_DEP_1) | instskip(NEXT) | instid1(SALU_CYCLE_1)
	s_or_b32 s3, s2, s3
	s_and_not1_b32 exec_lo, exec_lo, s3
	s_cbranch_execnz .LBB19_6
; %bb.7:
	s_or_b32 exec_lo, exec_lo, s3
.LBB19_8:
	s_delay_alu instid0(SALU_CYCLE_1)
	s_or_b32 exec_lo, exec_lo, s14
	v_cmp_gt_i32_e64 s2, s11, v0
	s_cbranch_execz .LBB19_11
	s_branch .LBB19_16
.LBB19_9:
                                        ; implicit-def: $sgpr10_sgpr11
	s_branch .LBB19_2
.LBB19_10:
                                        ; implicit-def: $vgpr3
	v_cmp_gt_i32_e64 s2, s11, v0
.LBB19_11:
	v_mov_b32_e32 v3, 0
	s_delay_alu instid0(VALU_DEP_2)
	s_and_saveexec_b32 s3, s2
	s_cbranch_execz .LBB19_15
; %bb.12:
	v_dual_mov_b32 v4, v0 :: v_dual_lshlrev_b32 v1, 2, v0
	s_add_u32 s2, s8, s6
	s_addc_u32 s6, s9, s7
	s_add_u32 s2, s4, s2
	s_addc_u32 s4, s5, s6
	v_add_co_u32 v1, s2, s2, v1
	s_delay_alu instid0(VALU_DEP_1)
	v_add_co_ci_u32_e64 v2, null, s4, 0, s2
	v_mov_b32_e32 v3, 0
	s_mov_b32 s4, 0
	s_lshl_b32 s5, s13, 2
.LBB19_13:                              ; =>This Inner Loop Header: Depth=1
	global_load_b32 v5, v[1:2], off
	v_add_nc_u32_e32 v4, s13, v4
	v_add_co_u32 v1, vcc_lo, v1, s5
	v_add_co_ci_u32_e32 v2, vcc_lo, 0, v2, vcc_lo
	s_waitcnt vmcnt(0)
	v_fmac_f32_e32 v3, v5, v5
	v_cmp_le_i32_e64 s2, s11, v4
	s_delay_alu instid0(VALU_DEP_1) | instskip(NEXT) | instid1(SALU_CYCLE_1)
	s_or_b32 s4, s2, s4
	s_and_not1_b32 exec_lo, exec_lo, s4
	s_cbranch_execnz .LBB19_13
; %bb.14:
	s_or_b32 exec_lo, exec_lo, s4
.LBB19_15:
	s_delay_alu instid0(SALU_CYCLE_1)
	s_or_b32 exec_lo, exec_lo, s3
.LBB19_16:
	v_mbcnt_lo_u32_b32 v1, -1, 0
	s_mov_b32 s2, exec_lo
	s_delay_alu instid0(VALU_DEP_1) | instskip(SKIP_2) | instid1(VALU_DEP_2)
	v_cmp_ne_u32_e32 vcc_lo, 31, v1
	v_add_co_ci_u32_e32 v2, vcc_lo, 0, v1, vcc_lo
	v_cmp_gt_u32_e32 vcc_lo, 30, v1
	v_lshlrev_b32_e32 v2, 2, v2
	v_cndmask_b32_e64 v6, 0, 1, vcc_lo
	ds_bpermute_b32 v5, v2, v3
	s_waitcnt lgkmcnt(0)
	v_dual_add_f32 v7, v3, v5 :: v_dual_and_b32 v4, 0x3e0, v0
	s_delay_alu instid0(VALU_DEP_1) | instskip(SKIP_1) | instid1(VALU_DEP_1)
	v_sub_nc_u32_e64 v12, s13, v4 clamp
	v_add_nc_u32_e32 v4, 1, v1
	v_cmp_lt_u32_e32 vcc_lo, v4, v12
	s_delay_alu instid0(VALU_DEP_4) | instskip(SKIP_2) | instid1(VALU_DEP_1)
	v_cndmask_b32_e32 v7, v3, v7, vcc_lo
	v_cmp_gt_u32_e32 vcc_lo, 28, v1
	v_cndmask_b32_e64 v3, 0, 1, vcc_lo
	v_lshlrev_b32_e32 v8, 2, v3
	v_add_nc_u32_e32 v3, 2, v1
	s_delay_alu instid0(VALU_DEP_1) | instskip(SKIP_1) | instid1(VALU_DEP_1)
	v_cmp_lt_u32_e32 vcc_lo, v3, v12
	v_lshlrev_b32_e32 v6, 1, v6
	v_add_lshl_u32 v5, v6, v1, 2
	ds_bpermute_b32 v6, v5, v7
	s_waitcnt lgkmcnt(0)
	v_add_f32_e32 v9, v7, v6
	v_add_lshl_u32 v6, v8, v1, 2
	s_delay_alu instid0(VALU_DEP_2) | instskip(SKIP_3) | instid1(VALU_DEP_1)
	v_cndmask_b32_e32 v9, v7, v9, vcc_lo
	v_cmp_gt_u32_e32 vcc_lo, 24, v1
	ds_bpermute_b32 v8, v6, v9
	v_cndmask_b32_e64 v7, 0, 1, vcc_lo
	v_lshlrev_b32_e32 v10, 3, v7
	v_add_nc_u32_e32 v7, 4, v1
	s_delay_alu instid0(VALU_DEP_1) | instskip(SKIP_3) | instid1(VALU_DEP_2)
	v_cmp_lt_u32_e32 vcc_lo, v7, v12
	s_waitcnt lgkmcnt(0)
	v_add_f32_e32 v11, v9, v8
	v_add_lshl_u32 v8, v10, v1, 2
	v_cndmask_b32_e32 v11, v9, v11, vcc_lo
	v_cmp_gt_u32_e32 vcc_lo, 16, v1
	ds_bpermute_b32 v10, v8, v11
	v_cndmask_b32_e64 v9, 0, 1, vcc_lo
	s_delay_alu instid0(VALU_DEP_1) | instskip(SKIP_1) | instid1(VALU_DEP_1)
	v_lshlrev_b32_e32 v13, 4, v9
	v_add_nc_u32_e32 v9, 8, v1
	v_cmp_lt_u32_e32 vcc_lo, v9, v12
	s_waitcnt lgkmcnt(0)
	v_add_f32_e32 v14, v11, v10
	v_add_lshl_u32 v10, v13, v1, 2
	s_delay_alu instid0(VALU_DEP_2)
	v_cndmask_b32_e32 v13, v11, v14, vcc_lo
	v_add_nc_u32_e32 v11, 16, v1
	ds_bpermute_b32 v14, v10, v13
	v_cmp_lt_u32_e32 vcc_lo, v11, v12
	s_waitcnt lgkmcnt(0)
	v_add_f32_e32 v14, v13, v14
	s_delay_alu instid0(VALU_DEP_1)
	v_cndmask_b32_e32 v12, v13, v14, vcc_lo
	v_cmpx_eq_u32_e32 0, v1
	s_cbranch_execz .LBB19_18
; %bb.17:
	v_lshrrev_b32_e32 v13, 3, v0
	s_delay_alu instid0(VALU_DEP_1)
	v_and_b32_e32 v13, 0x7c, v13
	ds_store_b32 v13, v12
.LBB19_18:
	s_or_b32 exec_lo, exec_lo, s2
	s_delay_alu instid0(SALU_CYCLE_1)
	s_mov_b32 s2, exec_lo
	s_waitcnt lgkmcnt(0)
	s_barrier
	buffer_gl0_inv
	v_cmpx_gt_u32_e32 32, v0
	s_cbranch_execz .LBB19_20
; %bb.19:
	v_lshlrev_b32_e32 v1, 2, v1
	s_add_i32 s3, s13, 31
	s_delay_alu instid0(SALU_CYCLE_1) | instskip(NEXT) | instid1(SALU_CYCLE_1)
	s_lshr_b32 s3, s3, 5
	v_cmp_gt_u32_e32 vcc_lo, s3, v4
	ds_load_b32 v1, v1
	s_waitcnt lgkmcnt(0)
	ds_bpermute_b32 v2, v2, v1
	s_waitcnt lgkmcnt(0)
	v_add_f32_e32 v2, v1, v2
	s_delay_alu instid0(VALU_DEP_1) | instskip(SKIP_4) | instid1(VALU_DEP_1)
	v_cndmask_b32_e32 v1, v1, v2, vcc_lo
	v_cmp_gt_u32_e32 vcc_lo, s3, v3
	ds_bpermute_b32 v2, v5, v1
	s_waitcnt lgkmcnt(0)
	v_add_f32_e32 v2, v1, v2
	v_cndmask_b32_e32 v1, v1, v2, vcc_lo
	v_cmp_gt_u32_e32 vcc_lo, s3, v7
	ds_bpermute_b32 v2, v6, v1
	s_waitcnt lgkmcnt(0)
	v_add_f32_e32 v2, v1, v2
	s_delay_alu instid0(VALU_DEP_1) | instskip(SKIP_4) | instid1(VALU_DEP_1)
	v_cndmask_b32_e32 v1, v1, v2, vcc_lo
	v_cmp_gt_u32_e32 vcc_lo, s3, v9
	ds_bpermute_b32 v2, v8, v1
	s_waitcnt lgkmcnt(0)
	v_add_f32_e32 v2, v1, v2
	v_cndmask_b32_e32 v1, v1, v2, vcc_lo
	v_cmp_gt_u32_e32 vcc_lo, s3, v11
	ds_bpermute_b32 v2, v10, v1
	s_waitcnt lgkmcnt(0)
	v_add_f32_e32 v2, v1, v2
	s_delay_alu instid0(VALU_DEP_1)
	v_cndmask_b32_e32 v12, v1, v2, vcc_lo
.LBB19_20:
	s_or_b32 exec_lo, exec_lo, s2
	s_delay_alu instid0(SALU_CYCLE_1)
	s_mov_b32 s2, exec_lo
	v_cmpx_eq_u32_e32 0, v0
	s_cbranch_execz .LBB19_22
; %bb.21:
	v_cvt_f32_i32_e32 v1, s11
	s_load_b32 s3, s[0:1], 0x40
	s_delay_alu instid0(VALU_DEP_1) | instskip(SKIP_1) | instid1(VALU_DEP_2)
	v_div_scale_f32 v2, null, v1, v1, v12
	v_div_scale_f32 v5, vcc_lo, v12, v1, v12
	v_rcp_f32_e32 v3, v2
	s_waitcnt_depctr 0xfff
	v_fma_f32 v4, -v2, v3, 1.0
	s_delay_alu instid0(VALU_DEP_1) | instskip(NEXT) | instid1(VALU_DEP_1)
	v_fmac_f32_e32 v3, v4, v3
	v_mul_f32_e32 v4, v5, v3
	s_delay_alu instid0(VALU_DEP_1) | instskip(NEXT) | instid1(VALU_DEP_1)
	v_fma_f32 v6, -v2, v4, v5
	v_fmac_f32_e32 v4, v6, v3
	s_delay_alu instid0(VALU_DEP_1) | instskip(NEXT) | instid1(VALU_DEP_1)
	v_fma_f32 v2, -v2, v4, v5
	v_div_fmas_f32 v2, v2, v3, v4
	s_delay_alu instid0(VALU_DEP_1) | instskip(SKIP_1) | instid1(VALU_DEP_1)
	v_div_fixup_f32 v1, v2, v1, v12
	s_waitcnt lgkmcnt(0)
	v_add_f32_e32 v1, s3, v1
	s_delay_alu instid0(VALU_DEP_1) | instskip(SKIP_1) | instid1(VALU_DEP_2)
	v_mul_f32_e32 v2, 0x4b800000, v1
	v_cmp_gt_f32_e32 vcc_lo, 0x800000, v1
	v_cndmask_b32_e32 v1, v1, v2, vcc_lo
	s_delay_alu instid0(VALU_DEP_1) | instskip(SKIP_2) | instid1(VALU_DEP_1)
	v_rsq_f32_e32 v1, v1
	s_waitcnt_depctr 0xfff
	v_mul_f32_e32 v2, 0x45800000, v1
	v_dual_cndmask_b32 v1, v1, v2 :: v_dual_mov_b32 v2, 0
	ds_store_b32 v2, v1 offset:128
.LBB19_22:
	s_or_b32 exec_lo, exec_lo, s2
	s_waitcnt lgkmcnt(0)
	s_barrier
	buffer_gl0_inv
	s_mov_b32 s2, exec_lo
	v_cmpx_gt_i32_e64 s11, v0
	s_cbranch_execz .LBB19_25
; %bb.23:
	v_mov_b32_e32 v1, 0
	s_clause 0x1
	s_load_b64 s[4:5], s[0:1], 0x0
	s_load_b64 s[2:3], s[0:1], 0x38
	s_mul_i32 s0, s15, s11
	s_mov_b32 s1, 0
	s_delay_alu instid0(SALU_CYCLE_1)
	s_lshl_b64 s[6:7], s[0:1], 2
	ds_load_b32 v2, v1 offset:128
	s_waitcnt lgkmcnt(0)
	s_add_u32 s4, s4, s6
	s_addc_u32 s5, s5, s7
	.p2align	6
.LBB19_24:                              ; =>This Inner Loop Header: Depth=1
	v_ashrrev_i32_e32 v1, 31, v0
	s_delay_alu instid0(VALU_DEP_1) | instskip(NEXT) | instid1(VALU_DEP_1)
	v_lshlrev_b64 v[3:4], 2, v[0:1]
	v_add_co_u32 v5, vcc_lo, s10, v3
	s_delay_alu instid0(VALU_DEP_2)
	v_add_co_ci_u32_e32 v6, vcc_lo, s12, v4, vcc_lo
	v_add_co_u32 v7, vcc_lo, s2, v3
	v_add_co_ci_u32_e32 v8, vcc_lo, s3, v4, vcc_lo
	v_add_co_u32 v3, s0, s4, v3
	global_load_b32 v1, v[5:6], off
	global_load_b32 v5, v[7:8], off
	v_add_nc_u32_e32 v0, s13, v0
	v_add_co_ci_u32_e64 v4, s0, s5, v4, s0
	s_waitcnt vmcnt(1)
	v_mul_f32_e32 v1, v1, v2
	s_delay_alu instid0(VALU_DEP_3) | instskip(SKIP_1) | instid1(VALU_DEP_2)
	v_cmp_le_i32_e32 vcc_lo, s11, v0
	s_waitcnt vmcnt(0)
	v_mul_f32_e32 v1, v5, v1
	s_or_b32 s1, vcc_lo, s1
	global_store_b32 v[3:4], v1, off
	s_and_not1_b32 exec_lo, exec_lo, s1
	s_cbranch_execnz .LBB19_24
.LBB19_25:
	s_nop 0
	s_sendmsg sendmsg(MSG_DEALLOC_VGPRS)
	s_endpgm
	.section	.rodata,"a",@progbits
	.p2align	6, 0x0
	.amdhsa_kernel _ZN4vllm15rms_norm_kernelIfLi1ELi3EEEvPT_PKS1_lllllS4_fii
		.amdhsa_group_segment_fixed_size 132
		.amdhsa_private_segment_fixed_size 0
		.amdhsa_kernarg_size 336
		.amdhsa_user_sgpr_count 15
		.amdhsa_user_sgpr_dispatch_ptr 0
		.amdhsa_user_sgpr_queue_ptr 0
		.amdhsa_user_sgpr_kernarg_segment_ptr 1
		.amdhsa_user_sgpr_dispatch_id 0
		.amdhsa_user_sgpr_private_segment_size 0
		.amdhsa_wavefront_size32 1
		.amdhsa_uses_dynamic_stack 0
		.amdhsa_enable_private_segment 0
		.amdhsa_system_sgpr_workgroup_id_x 1
		.amdhsa_system_sgpr_workgroup_id_y 0
		.amdhsa_system_sgpr_workgroup_id_z 0
		.amdhsa_system_sgpr_workgroup_info 0
		.amdhsa_system_vgpr_workitem_id 0
		.amdhsa_next_free_vgpr 15
		.amdhsa_next_free_sgpr 21
		.amdhsa_reserve_vcc 1
		.amdhsa_float_round_mode_32 0
		.amdhsa_float_round_mode_16_64 0
		.amdhsa_float_denorm_mode_32 3
		.amdhsa_float_denorm_mode_16_64 3
		.amdhsa_dx10_clamp 1
		.amdhsa_ieee_mode 1
		.amdhsa_fp16_overflow 0
		.amdhsa_workgroup_processor_mode 1
		.amdhsa_memory_ordered 1
		.amdhsa_forward_progress 0
		.amdhsa_shared_vgpr_count 0
		.amdhsa_exception_fp_ieee_invalid_op 0
		.amdhsa_exception_fp_denorm_src 0
		.amdhsa_exception_fp_ieee_div_zero 0
		.amdhsa_exception_fp_ieee_overflow 0
		.amdhsa_exception_fp_ieee_underflow 0
		.amdhsa_exception_fp_ieee_inexact 0
		.amdhsa_exception_int_div_zero 0
	.end_amdhsa_kernel
	.section	.text._ZN4vllm15rms_norm_kernelIfLi1ELi3EEEvPT_PKS1_lllllS4_fii,"axG",@progbits,_ZN4vllm15rms_norm_kernelIfLi1ELi3EEEvPT_PKS1_lllllS4_fii,comdat
.Lfunc_end19:
	.size	_ZN4vllm15rms_norm_kernelIfLi1ELi3EEEvPT_PKS1_lllllS4_fii, .Lfunc_end19-_ZN4vllm15rms_norm_kernelIfLi1ELi3EEEvPT_PKS1_lllllS4_fii
                                        ; -- End function
	.section	.AMDGPU.csdata,"",@progbits
; Kernel info:
; codeLenInByte = 2200
; NumSgprs: 23
; NumVgprs: 15
; ScratchSize: 0
; MemoryBound: 0
; FloatMode: 240
; IeeeMode: 1
; LDSByteSize: 132 bytes/workgroup (compile time only)
; SGPRBlocks: 2
; VGPRBlocks: 1
; NumSGPRsForWavesPerEU: 23
; NumVGPRsForWavesPerEU: 15
; Occupancy: 16
; WaveLimiterHint : 0
; COMPUTE_PGM_RSRC2:SCRATCH_EN: 0
; COMPUTE_PGM_RSRC2:USER_SGPR: 15
; COMPUTE_PGM_RSRC2:TRAP_HANDLER: 0
; COMPUTE_PGM_RSRC2:TGID_X_EN: 1
; COMPUTE_PGM_RSRC2:TGID_Y_EN: 0
; COMPUTE_PGM_RSRC2:TGID_Z_EN: 0
; COMPUTE_PGM_RSRC2:TIDIG_COMP_CNT: 0
	.section	.text._ZN4vllm15rms_norm_kernelIN3c104HalfELi16ELi3EEEvPT_PKS3_lllllS6_fii,"axG",@progbits,_ZN4vllm15rms_norm_kernelIN3c104HalfELi16ELi3EEEvPT_PKS3_lllllS6_fii,comdat
	.protected	_ZN4vllm15rms_norm_kernelIN3c104HalfELi16ELi3EEEvPT_PKS3_lllllS6_fii ; -- Begin function _ZN4vllm15rms_norm_kernelIN3c104HalfELi16ELi3EEEvPT_PKS3_lllllS6_fii
	.globl	_ZN4vllm15rms_norm_kernelIN3c104HalfELi16ELi3EEEvPT_PKS3_lllllS6_fii
	.p2align	8
	.type	_ZN4vllm15rms_norm_kernelIN3c104HalfELi16ELi3EEEvPT_PKS3_lllllS6_fii,@function
_ZN4vllm15rms_norm_kernelIN3c104HalfELi16ELi3EEEvPT_PKS3_lllllS6_fii: ; @_ZN4vllm15rms_norm_kernelIN3c104HalfELi16ELi3EEEvPT_PKS3_lllllS6_fii
; %bb.0:
	s_clause 0x1
	s_load_b64 s[2:3], s[0:1], 0x28
	s_load_b64 s[4:5], s[0:1], 0x8
	s_mov_b32 s6, 0
	s_waitcnt lgkmcnt(0)
	s_mov_b32 s7, s3
	s_delay_alu instid0(SALU_CYCLE_1)
	s_cmp_lg_u64 s[6:7], 0
	s_cbranch_scc0 .LBB20_33
; %bb.1:
	s_ashr_i32 s8, s3, 31
	s_delay_alu instid0(SALU_CYCLE_1) | instskip(SKIP_2) | instid1(SALU_CYCLE_1)
	s_add_u32 s10, s2, s8
	s_mov_b32 s9, s8
	s_addc_u32 s11, s3, s8
	s_xor_b64 s[10:11], s[10:11], s[8:9]
	s_delay_alu instid0(SALU_CYCLE_1) | instskip(SKIP_3) | instid1(VALU_DEP_1)
	v_cvt_f32_u32_e32 v1, s10
	v_cvt_f32_u32_e32 v2, s11
	s_sub_u32 s12, 0, s10
	s_subb_u32 s13, 0, s11
	v_fmamk_f32 v1, v2, 0x4f800000, v1
	s_delay_alu instid0(VALU_DEP_1) | instskip(SKIP_2) | instid1(VALU_DEP_1)
	v_rcp_f32_e32 v1, v1
	s_waitcnt_depctr 0xfff
	v_mul_f32_e32 v1, 0x5f7ffffc, v1
	v_mul_f32_e32 v2, 0x2f800000, v1
	s_delay_alu instid0(VALU_DEP_1) | instskip(NEXT) | instid1(VALU_DEP_1)
	v_trunc_f32_e32 v2, v2
	v_fmamk_f32 v1, v2, 0xcf800000, v1
	v_cvt_u32_f32_e32 v2, v2
	s_delay_alu instid0(VALU_DEP_2) | instskip(NEXT) | instid1(VALU_DEP_2)
	v_cvt_u32_f32_e32 v1, v1
	v_readfirstlane_b32 s3, v2
	s_delay_alu instid0(VALU_DEP_2) | instskip(NEXT) | instid1(VALU_DEP_2)
	v_readfirstlane_b32 s7, v1
	s_mul_i32 s14, s12, s3
	s_delay_alu instid0(VALU_DEP_1)
	s_mul_hi_u32 s17, s12, s7
	s_mul_i32 s16, s13, s7
	s_add_i32 s14, s17, s14
	s_mul_i32 s18, s12, s7
	s_add_i32 s14, s14, s16
	s_mul_hi_u32 s17, s7, s18
	s_mul_hi_u32 s19, s3, s18
	s_mul_i32 s16, s3, s18
	s_mul_hi_u32 s18, s7, s14
	s_mul_i32 s7, s7, s14
	s_mul_hi_u32 s20, s3, s14
	s_add_u32 s7, s17, s7
	s_addc_u32 s17, 0, s18
	s_add_u32 s7, s7, s16
	s_mul_i32 s14, s3, s14
	s_addc_u32 s7, s17, s19
	s_addc_u32 s16, s20, 0
	s_add_u32 s7, s7, s14
	s_addc_u32 s14, 0, s16
	v_add_co_u32 v1, s7, v1, s7
	s_delay_alu instid0(VALU_DEP_1) | instskip(SKIP_1) | instid1(VALU_DEP_1)
	s_cmp_lg_u32 s7, 0
	s_addc_u32 s3, s3, s14
	v_readfirstlane_b32 s7, v1
	s_mul_i32 s14, s12, s3
	s_delay_alu instid0(VALU_DEP_1)
	s_mul_hi_u32 s16, s12, s7
	s_mul_i32 s13, s13, s7
	s_add_i32 s14, s16, s14
	s_mul_i32 s12, s12, s7
	s_add_i32 s14, s14, s13
	s_mul_hi_u32 s16, s3, s12
	s_mul_i32 s17, s3, s12
	s_mul_hi_u32 s12, s7, s12
	s_mul_hi_u32 s18, s7, s14
	s_mul_i32 s7, s7, s14
	s_mul_hi_u32 s13, s3, s14
	s_add_u32 s7, s12, s7
	s_addc_u32 s12, 0, s18
	s_add_u32 s7, s7, s17
	s_mul_i32 s14, s3, s14
	s_addc_u32 s7, s12, s16
	s_addc_u32 s12, s13, 0
	s_add_u32 s7, s7, s14
	s_addc_u32 s12, 0, s12
	v_add_co_u32 v1, s7, v1, s7
	s_delay_alu instid0(VALU_DEP_1) | instskip(SKIP_1) | instid1(VALU_DEP_1)
	s_cmp_lg_u32 s7, 0
	s_addc_u32 s3, s3, s12
	v_readfirstlane_b32 s7, v1
	s_mul_i32 s12, s15, s3
	s_mul_hi_u32 s3, s15, s3
	s_delay_alu instid0(VALU_DEP_1) | instskip(NEXT) | instid1(SALU_CYCLE_1)
	s_mul_hi_u32 s7, s15, s7
	s_add_u32 s7, s7, s12
	s_addc_u32 s3, 0, s3
	s_add_u32 s7, s7, 0
	s_addc_u32 s3, s3, 0
	s_addc_u32 s7, 0, 0
	s_add_u32 s3, s3, 0
	s_addc_u32 s7, 0, s7
	s_mul_hi_u32 s12, s10, s3
	s_mul_i32 s14, s10, s7
	s_mul_i32 s16, s10, s3
	s_add_i32 s12, s12, s14
	v_sub_co_u32 v1, s14, s15, s16
	s_mul_i32 s13, s11, s3
	s_delay_alu instid0(SALU_CYCLE_1) | instskip(NEXT) | instid1(VALU_DEP_1)
	s_add_i32 s12, s12, s13
	v_sub_co_u32 v2, s16, v1, s10
	s_sub_i32 s13, 0, s12
	s_cmp_lg_u32 s14, 0
	s_subb_u32 s13, s13, s11
	s_cmp_lg_u32 s16, 0
	v_readfirstlane_b32 s16, v2
	s_subb_u32 s13, s13, 0
	s_delay_alu instid0(SALU_CYCLE_1) | instskip(SKIP_1) | instid1(VALU_DEP_1)
	s_cmp_ge_u32 s13, s11
	s_cselect_b32 s17, -1, 0
	s_cmp_ge_u32 s16, s10
	s_cselect_b32 s16, -1, 0
	s_cmp_eq_u32 s13, s11
	s_cselect_b32 s13, s16, s17
	s_add_u32 s16, s3, 1
	s_addc_u32 s17, s7, 0
	s_add_u32 s18, s3, 2
	s_addc_u32 s19, s7, 0
	s_cmp_lg_u32 s13, 0
	s_cselect_b32 s13, s18, s16
	s_cselect_b32 s16, s19, s17
	s_cmp_lg_u32 s14, 0
	v_readfirstlane_b32 s14, v1
	s_subb_u32 s12, 0, s12
	s_delay_alu instid0(SALU_CYCLE_1) | instskip(SKIP_1) | instid1(VALU_DEP_1)
	s_cmp_ge_u32 s12, s11
	s_cselect_b32 s17, -1, 0
	s_cmp_ge_u32 s14, s10
	s_cselect_b32 s10, -1, 0
	s_cmp_eq_u32 s12, s11
	s_cselect_b32 s10, s10, s17
	s_delay_alu instid0(SALU_CYCLE_1) | instskip(SKIP_2) | instid1(SALU_CYCLE_1)
	s_cmp_lg_u32 s10, 0
	s_cselect_b32 s11, s16, s7
	s_cselect_b32 s10, s13, s3
	s_xor_b64 s[10:11], s[10:11], s[8:9]
	s_delay_alu instid0(SALU_CYCLE_1)
	s_sub_u32 s10, s10, s8
	s_subb_u32 s11, s11, s8
	s_and_not1_b32 vcc_lo, exec_lo, s6
	s_cbranch_vccnz .LBB20_3
.LBB20_2:
	v_cvt_f32_u32_e32 v1, s2
	s_sub_i32 s6, 0, s2
	s_mov_b32 s11, 0
	s_delay_alu instid0(VALU_DEP_1) | instskip(SKIP_2) | instid1(VALU_DEP_1)
	v_rcp_iflag_f32_e32 v1, v1
	s_waitcnt_depctr 0xfff
	v_mul_f32_e32 v1, 0x4f7ffffe, v1
	v_cvt_u32_f32_e32 v1, v1
	s_delay_alu instid0(VALU_DEP_1) | instskip(NEXT) | instid1(VALU_DEP_1)
	v_readfirstlane_b32 s3, v1
	s_mul_i32 s6, s6, s3
	s_delay_alu instid0(SALU_CYCLE_1) | instskip(NEXT) | instid1(SALU_CYCLE_1)
	s_mul_hi_u32 s6, s3, s6
	s_add_i32 s3, s3, s6
	s_delay_alu instid0(SALU_CYCLE_1) | instskip(NEXT) | instid1(SALU_CYCLE_1)
	s_mul_hi_u32 s3, s15, s3
	s_mul_i32 s6, s3, s2
	s_add_i32 s7, s3, 1
	s_sub_i32 s6, s15, s6
	s_delay_alu instid0(SALU_CYCLE_1)
	s_sub_i32 s8, s6, s2
	s_cmp_ge_u32 s6, s2
	s_cselect_b32 s3, s7, s3
	s_cselect_b32 s6, s8, s6
	s_add_i32 s7, s3, 1
	s_cmp_ge_u32 s6, s2
	s_cselect_b32 s10, s7, s3
.LBB20_3:
	s_load_b128 s[16:19], s[0:1], 0x10
	s_bfe_i64 s[6:7], s[10:11], 0x200000
	s_clause 0x1
	s_load_b32 s3, s[0:1], 0x48
	s_load_b32 s14, s[0:1], 0x5c
	s_mul_i32 s2, s10, s2
	s_delay_alu instid0(SALU_CYCLE_1)
	s_sub_i32 s2, s15, s2
	s_waitcnt lgkmcnt(0)
	s_mul_i32 s6, s10, s19
	s_mul_hi_u32 s8, s10, s18
	s_mul_i32 s7, s7, s18
	s_add_i32 s8, s8, s6
	s_mul_i32 s6, s10, s18
	s_add_i32 s7, s8, s7
	s_mul_i32 s8, s2, s17
	s_lshl_b64 s[6:7], s[6:7], 1
	s_mul_hi_u32 s9, s2, s16
	s_add_u32 s10, s4, s6
	s_addc_u32 s13, s5, s7
	s_ashr_i32 s11, s2, 31
	s_add_i32 s9, s9, s8
	s_mul_i32 s11, s11, s16
	s_mul_i32 s8, s2, s16
	s_add_i32 s9, s9, s11
	s_mov_b32 s11, 0
	s_lshl_b64 s[8:9], s[8:9], 1
	s_delay_alu instid0(SALU_CYCLE_1)
	s_add_u32 s12, s10, s8
	s_addc_u32 s13, s13, s9
	s_and_b32 s10, s12, 31
	s_and_b32 s14, s14, 0xffff
	s_cmp_lg_u64 s[10:11], 0
	s_cselect_b32 s2, -1, 0
	s_and_b32 s10, s3, 15
	s_delay_alu instid0(SALU_CYCLE_1) | instskip(SKIP_1) | instid1(SALU_CYCLE_1)
	s_cmp_lg_u32 s10, 0
	s_cselect_b32 s10, -1, 0
	s_or_b32 s2, s10, s2
	s_delay_alu instid0(SALU_CYCLE_1)
	s_and_b32 vcc_lo, exec_lo, s2
	s_cbranch_vccz .LBB20_17
; %bb.4:
	s_sub_i32 s2, 0, s12
	v_mov_b32_e32 v4, 0
	s_bfe_u32 s2, s2, 0x40001
	s_mov_b32 s11, exec_lo
	s_min_i32 s10, s2, s3
	s_delay_alu instid0(SALU_CYCLE_1)
	v_cmpx_gt_i32_e64 s10, v0
	s_cbranch_execz .LBB20_8
; %bb.5:
	v_dual_mov_b32 v4, 0 :: v_dual_lshlrev_b32 v1, 1, v0
	s_add_u32 s2, s8, s6
	s_addc_u32 s16, s9, s7
	s_add_u32 s2, s4, s2
	s_addc_u32 s16, s5, s16
	v_add_co_u32 v1, s2, s2, v1
	s_delay_alu instid0(VALU_DEP_1)
	v_add_co_ci_u32_e64 v2, null, s16, 0, s2
	v_mov_b32_e32 v3, v0
	s_mov_b32 s16, 0
	s_lshl_b32 s17, s14, 1
.LBB20_6:                               ; =>This Inner Loop Header: Depth=1
	global_load_u16 v5, v[1:2], off
	v_add_nc_u32_e32 v3, s14, v3
	v_add_co_u32 v1, vcc_lo, v1, s17
	v_add_co_ci_u32_e32 v2, vcc_lo, 0, v2, vcc_lo
	s_delay_alu instid0(VALU_DEP_3) | instskip(NEXT) | instid1(VALU_DEP_1)
	v_cmp_le_i32_e64 s2, s10, v3
	s_or_b32 s16, s2, s16
	s_waitcnt vmcnt(0)
	v_fma_mix_f32 v4, v5, v5, v4 op_sel_hi:[1,1,0]
	s_and_not1_b32 exec_lo, exec_lo, s16
	s_cbranch_execnz .LBB20_6
; %bb.7:
	s_or_b32 exec_lo, exec_lo, s16
.LBB20_8:
	s_delay_alu instid0(SALU_CYCLE_1)
	s_or_b32 exec_lo, exec_lo, s11
	s_sub_i32 s16, s3, s10
	s_ashr_i32 s11, s10, 31
	s_ashr_i32 s2, s16, 31
	s_mov_b32 s18, exec_lo
	s_lshr_b32 s2, s2, 28
	s_delay_alu instid0(SALU_CYCLE_1) | instskip(NEXT) | instid1(SALU_CYCLE_1)
	s_add_i32 s2, s16, s2
	s_ashr_i32 s17, s2, 4
	s_delay_alu instid0(SALU_CYCLE_1)
	v_cmpx_gt_i32_e64 s17, v0
	s_cbranch_execz .LBB20_12
; %bb.9:
	s_add_u32 s2, s8, s6
	s_addc_u32 s19, s9, s7
	s_lshl_b64 s[20:21], s[10:11], 1
	v_lshlrev_b32_e32 v1, 5, v0
	s_add_u32 s20, s4, s20
	s_addc_u32 s21, s5, s21
	s_add_u32 s2, s20, s2
	s_addc_u32 s19, s21, s19
	v_add_co_u32 v1, s2, s2, v1
	s_delay_alu instid0(VALU_DEP_1)
	v_add_co_ci_u32_e64 v2, null, s19, 0, s2
	v_mov_b32_e32 v3, v0
	s_mov_b32 s19, 0
	s_lshl_b32 s20, s14, 5
	s_set_inst_prefetch_distance 0x1
	.p2align	6
.LBB20_10:                              ; =>This Inner Loop Header: Depth=1
	s_clause 0x1
	global_load_b128 v[5:8], v[1:2], off
	global_load_b128 v[9:12], v[1:2], off offset:16
	v_add_nc_u32_e32 v3, s14, v3
	v_add_co_u32 v1, vcc_lo, v1, s20
	v_add_co_ci_u32_e32 v2, vcc_lo, 0, v2, vcc_lo
	s_delay_alu instid0(VALU_DEP_3) | instskip(NEXT) | instid1(VALU_DEP_1)
	v_cmp_le_i32_e64 s2, s17, v3
	s_or_b32 s19, s2, s19
	s_waitcnt vmcnt(1)
	v_fma_mix_f32 v4, v5, v5, v4 op_sel_hi:[1,1,0]
	s_delay_alu instid0(VALU_DEP_1) | instskip(NEXT) | instid1(VALU_DEP_1)
	v_fma_mix_f32 v4, v5, v5, v4 op_sel:[1,1,0] op_sel_hi:[1,1,0]
	v_fma_mix_f32 v4, v6, v6, v4 op_sel_hi:[1,1,0]
	s_delay_alu instid0(VALU_DEP_1) | instskip(NEXT) | instid1(VALU_DEP_1)
	v_fma_mix_f32 v4, v6, v6, v4 op_sel:[1,1,0] op_sel_hi:[1,1,0]
	;; [unrolled: 3-line block ×3, first 2 shown]
	v_fma_mix_f32 v4, v8, v8, v4 op_sel_hi:[1,1,0]
	s_delay_alu instid0(VALU_DEP_1) | instskip(SKIP_1) | instid1(VALU_DEP_1)
	v_fma_mix_f32 v4, v8, v8, v4 op_sel:[1,1,0] op_sel_hi:[1,1,0]
	s_waitcnt vmcnt(0)
	v_fma_mix_f32 v4, v9, v9, v4 op_sel_hi:[1,1,0]
	s_delay_alu instid0(VALU_DEP_1) | instskip(NEXT) | instid1(VALU_DEP_1)
	v_fma_mix_f32 v4, v9, v9, v4 op_sel:[1,1,0] op_sel_hi:[1,1,0]
	v_fma_mix_f32 v4, v10, v10, v4 op_sel_hi:[1,1,0]
	s_delay_alu instid0(VALU_DEP_1) | instskip(NEXT) | instid1(VALU_DEP_1)
	v_fma_mix_f32 v4, v10, v10, v4 op_sel:[1,1,0] op_sel_hi:[1,1,0]
	;; [unrolled: 3-line block ×3, first 2 shown]
	v_fma_mix_f32 v4, v12, v12, v4 op_sel_hi:[1,1,0]
	s_delay_alu instid0(VALU_DEP_1)
	v_fma_mix_f32 v4, v12, v12, v4 op_sel:[1,1,0] op_sel_hi:[1,1,0]
	s_and_not1_b32 exec_lo, exec_lo, s19
	s_cbranch_execnz .LBB20_10
; %bb.11:
	s_set_inst_prefetch_distance 0x2
	s_or_b32 exec_lo, exec_lo, s19
.LBB20_12:
	s_delay_alu instid0(SALU_CYCLE_1) | instskip(SKIP_2) | instid1(VALU_DEP_1)
	s_or_b32 exec_lo, exec_lo, s18
	v_lshl_add_u32 v1, s17, 4, v0
	s_mov_b32 s17, exec_lo
	v_cmpx_gt_i32_e64 s16, v1
	s_cbranch_execz .LBB20_16
; %bb.13:
	v_ashrrev_i32_e32 v2, 31, v1
	s_add_u32 s2, s8, s6
	s_addc_u32 s18, s9, s7
	s_lshl_b64 s[10:11], s[10:11], 1
	s_delay_alu instid0(SALU_CYCLE_1)
	s_add_u32 s2, s2, s10
	v_lshlrev_b64 v[2:3], 1, v[1:2]
	s_addc_u32 s10, s18, s11
	s_add_u32 s2, s4, s2
	s_addc_u32 s10, s5, s10
	s_lshl_b32 s11, s14, 1
	s_delay_alu instid0(VALU_DEP_1)
	v_add_co_u32 v2, vcc_lo, s2, v2
	v_add_co_ci_u32_e32 v3, vcc_lo, s10, v3, vcc_lo
	s_mov_b32 s10, 0
.LBB20_14:                              ; =>This Inner Loop Header: Depth=1
	global_load_u16 v5, v[2:3], off
	v_add_nc_u32_e32 v1, s14, v1
	v_add_co_u32 v2, vcc_lo, v2, s11
	v_add_co_ci_u32_e32 v3, vcc_lo, 0, v3, vcc_lo
	s_delay_alu instid0(VALU_DEP_3) | instskip(NEXT) | instid1(VALU_DEP_1)
	v_cmp_le_i32_e64 s2, s16, v1
	s_or_b32 s10, s2, s10
	s_waitcnt vmcnt(0)
	v_fma_mix_f32 v4, v5, v5, v4 op_sel_hi:[1,1,0]
	s_and_not1_b32 exec_lo, exec_lo, s10
	s_cbranch_execnz .LBB20_14
; %bb.15:
	s_or_b32 exec_lo, exec_lo, s10
.LBB20_16:
	s_delay_alu instid0(SALU_CYCLE_1)
	s_or_b32 exec_lo, exec_lo, s17
	s_branch .LBB20_23
.LBB20_17:
                                        ; implicit-def: $vgpr4
	s_cbranch_execz .LBB20_23
; %bb.18:
	v_mov_b32_e32 v4, 0
	s_ashr_i32 s11, s3, 4
	s_mov_b32 s10, exec_lo
	v_cmpx_gt_i32_e64 s11, v0
	s_cbranch_execz .LBB20_22
; %bb.19:
	v_dual_mov_b32 v4, 0 :: v_dual_lshlrev_b32 v1, 5, v0
	s_add_u32 s2, s8, s6
	s_addc_u32 s6, s9, s7
	s_add_u32 s2, s4, s2
	s_addc_u32 s4, s5, s6
	v_add_co_u32 v1, s2, s2, v1
	s_delay_alu instid0(VALU_DEP_1)
	v_add_co_ci_u32_e64 v2, null, s4, 0, s2
	v_mov_b32_e32 v3, v0
	s_mov_b32 s4, 0
	s_lshl_b32 s5, s14, 5
	s_set_inst_prefetch_distance 0x1
	.p2align	6
.LBB20_20:                              ; =>This Inner Loop Header: Depth=1
	s_clause 0x1
	global_load_b128 v[5:8], v[1:2], off
	global_load_b128 v[9:12], v[1:2], off offset:16
	v_add_nc_u32_e32 v3, s14, v3
	v_add_co_u32 v1, vcc_lo, v1, s5
	v_add_co_ci_u32_e32 v2, vcc_lo, 0, v2, vcc_lo
	s_delay_alu instid0(VALU_DEP_3) | instskip(NEXT) | instid1(VALU_DEP_1)
	v_cmp_le_i32_e64 s2, s11, v3
	s_or_b32 s4, s2, s4
	s_waitcnt vmcnt(1)
	v_fma_mix_f32 v4, v5, v5, v4 op_sel_hi:[1,1,0]
	s_delay_alu instid0(VALU_DEP_1) | instskip(NEXT) | instid1(VALU_DEP_1)
	v_fma_mix_f32 v4, v5, v5, v4 op_sel:[1,1,0] op_sel_hi:[1,1,0]
	v_fma_mix_f32 v4, v6, v6, v4 op_sel_hi:[1,1,0]
	s_delay_alu instid0(VALU_DEP_1) | instskip(NEXT) | instid1(VALU_DEP_1)
	v_fma_mix_f32 v4, v6, v6, v4 op_sel:[1,1,0] op_sel_hi:[1,1,0]
	;; [unrolled: 3-line block ×3, first 2 shown]
	v_fma_mix_f32 v4, v8, v8, v4 op_sel_hi:[1,1,0]
	s_delay_alu instid0(VALU_DEP_1) | instskip(SKIP_1) | instid1(VALU_DEP_1)
	v_fma_mix_f32 v4, v8, v8, v4 op_sel:[1,1,0] op_sel_hi:[1,1,0]
	s_waitcnt vmcnt(0)
	v_fma_mix_f32 v4, v9, v9, v4 op_sel_hi:[1,1,0]
	s_delay_alu instid0(VALU_DEP_1) | instskip(NEXT) | instid1(VALU_DEP_1)
	v_fma_mix_f32 v4, v9, v9, v4 op_sel:[1,1,0] op_sel_hi:[1,1,0]
	v_fma_mix_f32 v4, v10, v10, v4 op_sel_hi:[1,1,0]
	s_delay_alu instid0(VALU_DEP_1) | instskip(NEXT) | instid1(VALU_DEP_1)
	v_fma_mix_f32 v4, v10, v10, v4 op_sel:[1,1,0] op_sel_hi:[1,1,0]
	;; [unrolled: 3-line block ×3, first 2 shown]
	v_fma_mix_f32 v4, v12, v12, v4 op_sel_hi:[1,1,0]
	s_delay_alu instid0(VALU_DEP_1)
	v_fma_mix_f32 v4, v12, v12, v4 op_sel:[1,1,0] op_sel_hi:[1,1,0]
	s_and_not1_b32 exec_lo, exec_lo, s4
	s_cbranch_execnz .LBB20_20
; %bb.21:
	s_set_inst_prefetch_distance 0x2
	s_or_b32 exec_lo, exec_lo, s4
.LBB20_22:
	s_delay_alu instid0(SALU_CYCLE_1)
	s_or_b32 exec_lo, exec_lo, s10
.LBB20_23:
	v_mbcnt_lo_u32_b32 v1, -1, 0
	v_and_b32_e32 v3, 0x3e0, v0
	s_mov_b32 s2, exec_lo
	s_delay_alu instid0(VALU_DEP_2) | instskip(NEXT) | instid1(VALU_DEP_2)
	v_cmp_ne_u32_e32 vcc_lo, 31, v1
	v_sub_nc_u32_e64 v12, s14, v3 clamp
	v_add_nc_u32_e32 v3, 1, v1
	v_add_co_ci_u32_e32 v2, vcc_lo, 0, v1, vcc_lo
	v_cmp_gt_u32_e32 vcc_lo, 30, v1
	s_delay_alu instid0(VALU_DEP_2)
	v_lshlrev_b32_e32 v2, 2, v2
	v_cndmask_b32_e64 v6, 0, 1, vcc_lo
	v_cmp_lt_u32_e32 vcc_lo, v3, v12
	ds_bpermute_b32 v5, v2, v4
	s_waitcnt lgkmcnt(0)
	v_dual_add_f32 v7, v4, v5 :: v_dual_lshlrev_b32 v6, 1, v6
	s_delay_alu instid0(VALU_DEP_1) | instskip(NEXT) | instid1(VALU_DEP_2)
	v_cndmask_b32_e32 v7, v4, v7, vcc_lo
	v_add_lshl_u32 v5, v6, v1, 2
	v_cmp_gt_u32_e32 vcc_lo, 28, v1
	ds_bpermute_b32 v6, v5, v7
	v_cndmask_b32_e64 v4, 0, 1, vcc_lo
	s_delay_alu instid0(VALU_DEP_1) | instskip(SKIP_1) | instid1(VALU_DEP_1)
	v_lshlrev_b32_e32 v8, 2, v4
	v_add_nc_u32_e32 v4, 2, v1
	v_cmp_lt_u32_e32 vcc_lo, v4, v12
	s_waitcnt lgkmcnt(0)
	v_add_f32_e32 v9, v7, v6
	v_add_lshl_u32 v6, v8, v1, 2
	s_delay_alu instid0(VALU_DEP_2) | instskip(SKIP_2) | instid1(VALU_DEP_1)
	v_cndmask_b32_e32 v9, v7, v9, vcc_lo
	v_cmp_gt_u32_e32 vcc_lo, 24, v1
	v_cndmask_b32_e64 v7, 0, 1, vcc_lo
	v_lshlrev_b32_e32 v10, 3, v7
	ds_bpermute_b32 v8, v6, v9
	v_add_nc_u32_e32 v7, 4, v1
	s_delay_alu instid0(VALU_DEP_1) | instskip(SKIP_3) | instid1(VALU_DEP_2)
	v_cmp_lt_u32_e32 vcc_lo, v7, v12
	s_waitcnt lgkmcnt(0)
	v_add_f32_e32 v11, v9, v8
	v_add_lshl_u32 v8, v10, v1, 2
	v_cndmask_b32_e32 v11, v9, v11, vcc_lo
	v_cmp_gt_u32_e32 vcc_lo, 16, v1
	ds_bpermute_b32 v10, v8, v11
	v_cndmask_b32_e64 v9, 0, 1, vcc_lo
	s_delay_alu instid0(VALU_DEP_1) | instskip(SKIP_1) | instid1(VALU_DEP_1)
	v_lshlrev_b32_e32 v13, 4, v9
	v_add_nc_u32_e32 v9, 8, v1
	v_cmp_lt_u32_e32 vcc_lo, v9, v12
	s_waitcnt lgkmcnt(0)
	v_add_f32_e32 v14, v11, v10
	v_add_lshl_u32 v10, v13, v1, 2
	s_delay_alu instid0(VALU_DEP_2)
	v_cndmask_b32_e32 v13, v11, v14, vcc_lo
	v_add_nc_u32_e32 v11, 16, v1
	ds_bpermute_b32 v14, v10, v13
	v_cmp_lt_u32_e32 vcc_lo, v11, v12
	s_waitcnt lgkmcnt(0)
	v_add_f32_e32 v14, v13, v14
	s_delay_alu instid0(VALU_DEP_1)
	v_cndmask_b32_e32 v12, v13, v14, vcc_lo
	v_cmpx_eq_u32_e32 0, v1
	s_cbranch_execz .LBB20_25
; %bb.24:
	v_lshrrev_b32_e32 v13, 3, v0
	s_delay_alu instid0(VALU_DEP_1)
	v_and_b32_e32 v13, 0x7c, v13
	ds_store_b32 v13, v12
.LBB20_25:
	s_or_b32 exec_lo, exec_lo, s2
	s_delay_alu instid0(SALU_CYCLE_1)
	s_mov_b32 s2, exec_lo
	s_waitcnt lgkmcnt(0)
	s_barrier
	buffer_gl0_inv
	v_cmpx_gt_u32_e32 32, v0
	s_cbranch_execz .LBB20_27
; %bb.26:
	v_lshlrev_b32_e32 v1, 2, v1
	s_add_i32 s4, s14, 31
	s_delay_alu instid0(SALU_CYCLE_1) | instskip(NEXT) | instid1(SALU_CYCLE_1)
	s_lshr_b32 s4, s4, 5
	v_cmp_gt_u32_e32 vcc_lo, s4, v3
	ds_load_b32 v1, v1
	s_waitcnt lgkmcnt(0)
	ds_bpermute_b32 v2, v2, v1
	s_waitcnt lgkmcnt(0)
	v_add_f32_e32 v2, v1, v2
	s_delay_alu instid0(VALU_DEP_1) | instskip(SKIP_4) | instid1(VALU_DEP_1)
	v_cndmask_b32_e32 v1, v1, v2, vcc_lo
	v_cmp_gt_u32_e32 vcc_lo, s4, v4
	ds_bpermute_b32 v2, v5, v1
	s_waitcnt lgkmcnt(0)
	v_add_f32_e32 v2, v1, v2
	v_cndmask_b32_e32 v1, v1, v2, vcc_lo
	v_cmp_gt_u32_e32 vcc_lo, s4, v7
	ds_bpermute_b32 v2, v6, v1
	s_waitcnt lgkmcnt(0)
	v_add_f32_e32 v2, v1, v2
	s_delay_alu instid0(VALU_DEP_1) | instskip(SKIP_4) | instid1(VALU_DEP_1)
	v_cndmask_b32_e32 v1, v1, v2, vcc_lo
	v_cmp_gt_u32_e32 vcc_lo, s4, v9
	ds_bpermute_b32 v2, v8, v1
	s_waitcnt lgkmcnt(0)
	v_add_f32_e32 v2, v1, v2
	v_cndmask_b32_e32 v1, v1, v2, vcc_lo
	v_cmp_gt_u32_e32 vcc_lo, s4, v11
	ds_bpermute_b32 v2, v10, v1
	s_waitcnt lgkmcnt(0)
	v_add_f32_e32 v2, v1, v2
	s_delay_alu instid0(VALU_DEP_1)
	v_cndmask_b32_e32 v12, v1, v2, vcc_lo
.LBB20_27:
	s_or_b32 exec_lo, exec_lo, s2
	s_delay_alu instid0(SALU_CYCLE_1)
	s_mov_b32 s2, exec_lo
	v_cmpx_eq_u32_e32 0, v0
	s_cbranch_execz .LBB20_29
; %bb.28:
	v_cvt_f32_i32_e32 v1, s3
	s_load_b32 s4, s[0:1], 0x40
	s_delay_alu instid0(VALU_DEP_1) | instskip(SKIP_1) | instid1(VALU_DEP_2)
	v_div_scale_f32 v2, null, v1, v1, v12
	v_div_scale_f32 v5, vcc_lo, v12, v1, v12
	v_rcp_f32_e32 v3, v2
	s_waitcnt_depctr 0xfff
	v_fma_f32 v4, -v2, v3, 1.0
	s_delay_alu instid0(VALU_DEP_1) | instskip(NEXT) | instid1(VALU_DEP_1)
	v_fmac_f32_e32 v3, v4, v3
	v_mul_f32_e32 v4, v5, v3
	s_delay_alu instid0(VALU_DEP_1) | instskip(NEXT) | instid1(VALU_DEP_1)
	v_fma_f32 v6, -v2, v4, v5
	v_fmac_f32_e32 v4, v6, v3
	s_delay_alu instid0(VALU_DEP_1) | instskip(NEXT) | instid1(VALU_DEP_1)
	v_fma_f32 v2, -v2, v4, v5
	v_div_fmas_f32 v2, v2, v3, v4
	s_delay_alu instid0(VALU_DEP_1) | instskip(SKIP_1) | instid1(VALU_DEP_1)
	v_div_fixup_f32 v1, v2, v1, v12
	s_waitcnt lgkmcnt(0)
	v_add_f32_e32 v1, s4, v1
	s_delay_alu instid0(VALU_DEP_1) | instskip(SKIP_1) | instid1(VALU_DEP_2)
	v_mul_f32_e32 v2, 0x4b800000, v1
	v_cmp_gt_f32_e32 vcc_lo, 0x800000, v1
	v_cndmask_b32_e32 v1, v1, v2, vcc_lo
	s_delay_alu instid0(VALU_DEP_1) | instskip(SKIP_2) | instid1(VALU_DEP_1)
	v_rsq_f32_e32 v1, v1
	s_waitcnt_depctr 0xfff
	v_mul_f32_e32 v2, 0x45800000, v1
	v_dual_cndmask_b32 v1, v1, v2 :: v_dual_mov_b32 v2, 0
	ds_store_b32 v2, v1 offset:128
.LBB20_29:
	s_or_b32 exec_lo, exec_lo, s2
	s_ashr_i32 s2, s3, 31
	s_waitcnt lgkmcnt(0)
	s_lshr_b32 s2, s2, 28
	s_barrier
	s_add_i32 s2, s3, s2
	buffer_gl0_inv
	s_ashr_i32 s4, s2, 4
	s_mov_b32 s2, exec_lo
	v_cmpx_gt_i32_e64 s4, v0
	s_cbranch_execz .LBB20_32
; %bb.30:
	v_dual_mov_b32 v1, 0 :: v_dual_lshlrev_b32 v2, 5, v0
	s_clause 0x1
	s_load_b64 s[6:7], s[0:1], 0x0
	s_load_b64 s[0:1], s[0:1], 0x38
	s_mul_i32 s2, s15, s3
	s_mov_b32 s3, 0
	ds_load_b32 v1, v1 offset:128
	s_lshl_b64 s[8:9], s[2:3], 1
	s_waitcnt lgkmcnt(0)
	s_add_u32 s2, s6, s8
	s_addc_u32 s5, s7, s9
	s_lshl_b32 s6, s14, 5
.LBB20_31:                              ; =>This Inner Loop Header: Depth=1
	v_add_co_u32 v7, s7, s12, v2
	s_delay_alu instid0(VALU_DEP_1) | instskip(SKIP_1) | instid1(VALU_DEP_1)
	v_add_co_ci_u32_e64 v8, null, s13, 0, s7
	v_add_co_u32 v15, s7, s0, v2
	v_add_co_ci_u32_e64 v16, null, s1, 0, s7
	s_clause 0x1
	global_load_b128 v[3:6], v[7:8], off
	global_load_b128 v[7:10], v[7:8], off offset:16
	s_clause 0x1
	global_load_b128 v[11:14], v[15:16], off
	global_load_b128 v[15:18], v[15:16], off offset:16
	v_add_nc_u32_e32 v0, s14, v0
	v_add_co_u32 v19, s7, s2, v2
	s_add_u32 s2, s2, s6
	v_add_co_ci_u32_e64 v20, null, s5, 0, s7
	s_addc_u32 s5, s5, 0
	v_cmp_le_i32_e32 vcc_lo, s4, v0
	s_add_u32 s12, s12, s6
	s_addc_u32 s13, s13, 0
	s_add_u32 s0, s0, s6
	s_addc_u32 s1, s1, 0
	s_or_b32 s3, vcc_lo, s3
	s_waitcnt vmcnt(3)
	v_fma_mixlo_f16 v21, v1, v3, 0 op_sel_hi:[0,1,0]
	v_fma_mixlo_f16 v22, v1, v4, 0 op_sel_hi:[0,1,0]
	;; [unrolled: 1-line block ×4, first 2 shown]
	s_waitcnt vmcnt(2)
	v_fma_mixlo_f16 v25, v1, v7, 0 op_sel_hi:[0,1,0]
	v_fma_mixlo_f16 v26, v1, v8, 0 op_sel_hi:[0,1,0]
	;; [unrolled: 1-line block ×4, first 2 shown]
	v_fma_mixhi_f16 v21, v1, v3, 0 op_sel:[0,1,0] op_sel_hi:[0,1,0]
	v_fma_mixhi_f16 v22, v1, v4, 0 op_sel:[0,1,0] op_sel_hi:[0,1,0]
	;; [unrolled: 1-line block ×8, first 2 shown]
	s_waitcnt vmcnt(1)
	v_pk_mul_f16 v3, v11, v21
	v_pk_mul_f16 v4, v12, v22
	;; [unrolled: 1-line block ×4, first 2 shown]
	s_waitcnt vmcnt(0)
	v_pk_mul_f16 v7, v15, v25
	v_pk_mul_f16 v8, v16, v26
	;; [unrolled: 1-line block ×4, first 2 shown]
	s_clause 0x1
	global_store_b128 v[19:20], v[3:6], off
	global_store_b128 v[19:20], v[7:10], off offset:16
	s_and_not1_b32 exec_lo, exec_lo, s3
	s_cbranch_execnz .LBB20_31
.LBB20_32:
	s_nop 0
	s_sendmsg sendmsg(MSG_DEALLOC_VGPRS)
	s_endpgm
.LBB20_33:
                                        ; implicit-def: $sgpr10_sgpr11
	s_branch .LBB20_2
	.section	.rodata,"a",@progbits
	.p2align	6, 0x0
	.amdhsa_kernel _ZN4vllm15rms_norm_kernelIN3c104HalfELi16ELi3EEEvPT_PKS3_lllllS6_fii
		.amdhsa_group_segment_fixed_size 132
		.amdhsa_private_segment_fixed_size 0
		.amdhsa_kernarg_size 336
		.amdhsa_user_sgpr_count 15
		.amdhsa_user_sgpr_dispatch_ptr 0
		.amdhsa_user_sgpr_queue_ptr 0
		.amdhsa_user_sgpr_kernarg_segment_ptr 1
		.amdhsa_user_sgpr_dispatch_id 0
		.amdhsa_user_sgpr_private_segment_size 0
		.amdhsa_wavefront_size32 1
		.amdhsa_uses_dynamic_stack 0
		.amdhsa_enable_private_segment 0
		.amdhsa_system_sgpr_workgroup_id_x 1
		.amdhsa_system_sgpr_workgroup_id_y 0
		.amdhsa_system_sgpr_workgroup_id_z 0
		.amdhsa_system_sgpr_workgroup_info 0
		.amdhsa_system_vgpr_workitem_id 0
		.amdhsa_next_free_vgpr 29
		.amdhsa_next_free_sgpr 22
		.amdhsa_reserve_vcc 1
		.amdhsa_float_round_mode_32 0
		.amdhsa_float_round_mode_16_64 0
		.amdhsa_float_denorm_mode_32 3
		.amdhsa_float_denorm_mode_16_64 3
		.amdhsa_dx10_clamp 1
		.amdhsa_ieee_mode 1
		.amdhsa_fp16_overflow 0
		.amdhsa_workgroup_processor_mode 1
		.amdhsa_memory_ordered 1
		.amdhsa_forward_progress 0
		.amdhsa_shared_vgpr_count 0
		.amdhsa_exception_fp_ieee_invalid_op 0
		.amdhsa_exception_fp_denorm_src 0
		.amdhsa_exception_fp_ieee_div_zero 0
		.amdhsa_exception_fp_ieee_overflow 0
		.amdhsa_exception_fp_ieee_underflow 0
		.amdhsa_exception_fp_ieee_inexact 0
		.amdhsa_exception_int_div_zero 0
	.end_amdhsa_kernel
	.section	.text._ZN4vllm15rms_norm_kernelIN3c104HalfELi16ELi3EEEvPT_PKS3_lllllS6_fii,"axG",@progbits,_ZN4vllm15rms_norm_kernelIN3c104HalfELi16ELi3EEEvPT_PKS3_lllllS6_fii,comdat
.Lfunc_end20:
	.size	_ZN4vllm15rms_norm_kernelIN3c104HalfELi16ELi3EEEvPT_PKS3_lllllS6_fii, .Lfunc_end20-_ZN4vllm15rms_norm_kernelIN3c104HalfELi16ELi3EEEvPT_PKS3_lllllS6_fii
                                        ; -- End function
	.section	.AMDGPU.csdata,"",@progbits
; Kernel info:
; codeLenInByte = 3188
; NumSgprs: 24
; NumVgprs: 29
; ScratchSize: 0
; MemoryBound: 0
; FloatMode: 240
; IeeeMode: 1
; LDSByteSize: 132 bytes/workgroup (compile time only)
; SGPRBlocks: 2
; VGPRBlocks: 3
; NumSGPRsForWavesPerEU: 24
; NumVGPRsForWavesPerEU: 29
; Occupancy: 16
; WaveLimiterHint : 0
; COMPUTE_PGM_RSRC2:SCRATCH_EN: 0
; COMPUTE_PGM_RSRC2:USER_SGPR: 15
; COMPUTE_PGM_RSRC2:TRAP_HANDLER: 0
; COMPUTE_PGM_RSRC2:TGID_X_EN: 1
; COMPUTE_PGM_RSRC2:TGID_Y_EN: 0
; COMPUTE_PGM_RSRC2:TGID_Z_EN: 0
; COMPUTE_PGM_RSRC2:TIDIG_COMP_CNT: 0
	.section	.text._ZN4vllm15rms_norm_kernelIN3c104HalfELi8ELi3EEEvPT_PKS3_lllllS6_fii,"axG",@progbits,_ZN4vllm15rms_norm_kernelIN3c104HalfELi8ELi3EEEvPT_PKS3_lllllS6_fii,comdat
	.protected	_ZN4vllm15rms_norm_kernelIN3c104HalfELi8ELi3EEEvPT_PKS3_lllllS6_fii ; -- Begin function _ZN4vllm15rms_norm_kernelIN3c104HalfELi8ELi3EEEvPT_PKS3_lllllS6_fii
	.globl	_ZN4vllm15rms_norm_kernelIN3c104HalfELi8ELi3EEEvPT_PKS3_lllllS6_fii
	.p2align	8
	.type	_ZN4vllm15rms_norm_kernelIN3c104HalfELi8ELi3EEEvPT_PKS3_lllllS6_fii,@function
_ZN4vllm15rms_norm_kernelIN3c104HalfELi8ELi3EEEvPT_PKS3_lllllS6_fii: ; @_ZN4vllm15rms_norm_kernelIN3c104HalfELi8ELi3EEEvPT_PKS3_lllllS6_fii
; %bb.0:
	s_clause 0x1
	s_load_b64 s[2:3], s[0:1], 0x28
	s_load_b64 s[4:5], s[0:1], 0x8
	s_mov_b32 s6, 0
	s_waitcnt lgkmcnt(0)
	s_mov_b32 s7, s3
	s_delay_alu instid0(SALU_CYCLE_1)
	s_cmp_lg_u64 s[6:7], 0
	s_cbranch_scc0 .LBB21_33
; %bb.1:
	s_ashr_i32 s8, s3, 31
	s_delay_alu instid0(SALU_CYCLE_1) | instskip(SKIP_2) | instid1(SALU_CYCLE_1)
	s_add_u32 s10, s2, s8
	s_mov_b32 s9, s8
	s_addc_u32 s11, s3, s8
	s_xor_b64 s[10:11], s[10:11], s[8:9]
	s_delay_alu instid0(SALU_CYCLE_1) | instskip(SKIP_3) | instid1(VALU_DEP_1)
	v_cvt_f32_u32_e32 v1, s10
	v_cvt_f32_u32_e32 v2, s11
	s_sub_u32 s12, 0, s10
	s_subb_u32 s13, 0, s11
	v_fmamk_f32 v1, v2, 0x4f800000, v1
	s_delay_alu instid0(VALU_DEP_1) | instskip(SKIP_2) | instid1(VALU_DEP_1)
	v_rcp_f32_e32 v1, v1
	s_waitcnt_depctr 0xfff
	v_mul_f32_e32 v1, 0x5f7ffffc, v1
	v_mul_f32_e32 v2, 0x2f800000, v1
	s_delay_alu instid0(VALU_DEP_1) | instskip(NEXT) | instid1(VALU_DEP_1)
	v_trunc_f32_e32 v2, v2
	v_fmamk_f32 v1, v2, 0xcf800000, v1
	v_cvt_u32_f32_e32 v2, v2
	s_delay_alu instid0(VALU_DEP_2) | instskip(NEXT) | instid1(VALU_DEP_2)
	v_cvt_u32_f32_e32 v1, v1
	v_readfirstlane_b32 s3, v2
	s_delay_alu instid0(VALU_DEP_2) | instskip(NEXT) | instid1(VALU_DEP_2)
	v_readfirstlane_b32 s7, v1
	s_mul_i32 s14, s12, s3
	s_delay_alu instid0(VALU_DEP_1)
	s_mul_hi_u32 s17, s12, s7
	s_mul_i32 s16, s13, s7
	s_add_i32 s14, s17, s14
	s_mul_i32 s18, s12, s7
	s_add_i32 s14, s14, s16
	s_mul_hi_u32 s17, s7, s18
	s_mul_hi_u32 s19, s3, s18
	s_mul_i32 s16, s3, s18
	s_mul_hi_u32 s18, s7, s14
	s_mul_i32 s7, s7, s14
	s_mul_hi_u32 s20, s3, s14
	s_add_u32 s7, s17, s7
	s_addc_u32 s17, 0, s18
	s_add_u32 s7, s7, s16
	s_mul_i32 s14, s3, s14
	s_addc_u32 s7, s17, s19
	s_addc_u32 s16, s20, 0
	s_add_u32 s7, s7, s14
	s_addc_u32 s14, 0, s16
	v_add_co_u32 v1, s7, v1, s7
	s_delay_alu instid0(VALU_DEP_1) | instskip(SKIP_1) | instid1(VALU_DEP_1)
	s_cmp_lg_u32 s7, 0
	s_addc_u32 s3, s3, s14
	v_readfirstlane_b32 s7, v1
	s_mul_i32 s14, s12, s3
	s_delay_alu instid0(VALU_DEP_1)
	s_mul_hi_u32 s16, s12, s7
	s_mul_i32 s13, s13, s7
	s_add_i32 s14, s16, s14
	s_mul_i32 s12, s12, s7
	s_add_i32 s14, s14, s13
	s_mul_hi_u32 s16, s3, s12
	s_mul_i32 s17, s3, s12
	s_mul_hi_u32 s12, s7, s12
	s_mul_hi_u32 s18, s7, s14
	s_mul_i32 s7, s7, s14
	s_mul_hi_u32 s13, s3, s14
	s_add_u32 s7, s12, s7
	s_addc_u32 s12, 0, s18
	s_add_u32 s7, s7, s17
	s_mul_i32 s14, s3, s14
	s_addc_u32 s7, s12, s16
	s_addc_u32 s12, s13, 0
	s_add_u32 s7, s7, s14
	s_addc_u32 s12, 0, s12
	v_add_co_u32 v1, s7, v1, s7
	s_delay_alu instid0(VALU_DEP_1) | instskip(SKIP_1) | instid1(VALU_DEP_1)
	s_cmp_lg_u32 s7, 0
	s_addc_u32 s3, s3, s12
	v_readfirstlane_b32 s7, v1
	s_mul_i32 s12, s15, s3
	s_mul_hi_u32 s3, s15, s3
	s_delay_alu instid0(VALU_DEP_1) | instskip(NEXT) | instid1(SALU_CYCLE_1)
	s_mul_hi_u32 s7, s15, s7
	s_add_u32 s7, s7, s12
	s_addc_u32 s3, 0, s3
	s_add_u32 s7, s7, 0
	s_addc_u32 s3, s3, 0
	s_addc_u32 s7, 0, 0
	s_add_u32 s3, s3, 0
	s_addc_u32 s7, 0, s7
	s_mul_hi_u32 s12, s10, s3
	s_mul_i32 s14, s10, s7
	s_mul_i32 s16, s10, s3
	s_add_i32 s12, s12, s14
	v_sub_co_u32 v1, s14, s15, s16
	s_mul_i32 s13, s11, s3
	s_delay_alu instid0(SALU_CYCLE_1) | instskip(NEXT) | instid1(VALU_DEP_1)
	s_add_i32 s12, s12, s13
	v_sub_co_u32 v2, s16, v1, s10
	s_sub_i32 s13, 0, s12
	s_cmp_lg_u32 s14, 0
	s_subb_u32 s13, s13, s11
	s_cmp_lg_u32 s16, 0
	v_readfirstlane_b32 s16, v2
	s_subb_u32 s13, s13, 0
	s_delay_alu instid0(SALU_CYCLE_1) | instskip(SKIP_1) | instid1(VALU_DEP_1)
	s_cmp_ge_u32 s13, s11
	s_cselect_b32 s17, -1, 0
	s_cmp_ge_u32 s16, s10
	s_cselect_b32 s16, -1, 0
	s_cmp_eq_u32 s13, s11
	s_cselect_b32 s13, s16, s17
	s_add_u32 s16, s3, 1
	s_addc_u32 s17, s7, 0
	s_add_u32 s18, s3, 2
	s_addc_u32 s19, s7, 0
	s_cmp_lg_u32 s13, 0
	s_cselect_b32 s13, s18, s16
	s_cselect_b32 s16, s19, s17
	s_cmp_lg_u32 s14, 0
	v_readfirstlane_b32 s14, v1
	s_subb_u32 s12, 0, s12
	s_delay_alu instid0(SALU_CYCLE_1) | instskip(SKIP_1) | instid1(VALU_DEP_1)
	s_cmp_ge_u32 s12, s11
	s_cselect_b32 s17, -1, 0
	s_cmp_ge_u32 s14, s10
	s_cselect_b32 s10, -1, 0
	s_cmp_eq_u32 s12, s11
	s_cselect_b32 s10, s10, s17
	s_delay_alu instid0(SALU_CYCLE_1) | instskip(SKIP_2) | instid1(SALU_CYCLE_1)
	s_cmp_lg_u32 s10, 0
	s_cselect_b32 s11, s16, s7
	s_cselect_b32 s10, s13, s3
	s_xor_b64 s[10:11], s[10:11], s[8:9]
	s_delay_alu instid0(SALU_CYCLE_1)
	s_sub_u32 s10, s10, s8
	s_subb_u32 s11, s11, s8
	s_and_not1_b32 vcc_lo, exec_lo, s6
	s_cbranch_vccnz .LBB21_3
.LBB21_2:
	v_cvt_f32_u32_e32 v1, s2
	s_sub_i32 s6, 0, s2
	s_mov_b32 s11, 0
	s_delay_alu instid0(VALU_DEP_1) | instskip(SKIP_2) | instid1(VALU_DEP_1)
	v_rcp_iflag_f32_e32 v1, v1
	s_waitcnt_depctr 0xfff
	v_mul_f32_e32 v1, 0x4f7ffffe, v1
	v_cvt_u32_f32_e32 v1, v1
	s_delay_alu instid0(VALU_DEP_1) | instskip(NEXT) | instid1(VALU_DEP_1)
	v_readfirstlane_b32 s3, v1
	s_mul_i32 s6, s6, s3
	s_delay_alu instid0(SALU_CYCLE_1) | instskip(NEXT) | instid1(SALU_CYCLE_1)
	s_mul_hi_u32 s6, s3, s6
	s_add_i32 s3, s3, s6
	s_delay_alu instid0(SALU_CYCLE_1) | instskip(NEXT) | instid1(SALU_CYCLE_1)
	s_mul_hi_u32 s3, s15, s3
	s_mul_i32 s6, s3, s2
	s_add_i32 s7, s3, 1
	s_sub_i32 s6, s15, s6
	s_delay_alu instid0(SALU_CYCLE_1)
	s_sub_i32 s8, s6, s2
	s_cmp_ge_u32 s6, s2
	s_cselect_b32 s3, s7, s3
	s_cselect_b32 s6, s8, s6
	s_add_i32 s7, s3, 1
	s_cmp_ge_u32 s6, s2
	s_cselect_b32 s10, s7, s3
.LBB21_3:
	s_load_b128 s[16:19], s[0:1], 0x10
	s_bfe_i64 s[6:7], s[10:11], 0x200000
	s_clause 0x1
	s_load_b32 s3, s[0:1], 0x48
	s_load_b32 s14, s[0:1], 0x5c
	s_mul_i32 s2, s10, s2
	s_delay_alu instid0(SALU_CYCLE_1)
	s_sub_i32 s2, s15, s2
	s_waitcnt lgkmcnt(0)
	s_mul_i32 s6, s10, s19
	s_mul_hi_u32 s8, s10, s18
	s_mul_i32 s7, s7, s18
	s_add_i32 s8, s8, s6
	s_mul_i32 s6, s10, s18
	s_add_i32 s7, s8, s7
	s_mul_i32 s8, s2, s17
	s_lshl_b64 s[6:7], s[6:7], 1
	s_mul_hi_u32 s9, s2, s16
	s_add_u32 s10, s4, s6
	s_addc_u32 s13, s5, s7
	s_ashr_i32 s11, s2, 31
	s_add_i32 s9, s9, s8
	s_mul_i32 s11, s11, s16
	s_mul_i32 s8, s2, s16
	s_add_i32 s9, s9, s11
	s_mov_b32 s11, 0
	s_lshl_b64 s[8:9], s[8:9], 1
	s_delay_alu instid0(SALU_CYCLE_1)
	s_add_u32 s12, s10, s8
	s_addc_u32 s13, s13, s9
	s_and_b32 s10, s12, 15
	s_and_b32 s14, s14, 0xffff
	s_cmp_lg_u64 s[10:11], 0
	s_cselect_b32 s2, -1, 0
	s_and_b32 s10, s3, 7
	s_delay_alu instid0(SALU_CYCLE_1) | instskip(SKIP_1) | instid1(SALU_CYCLE_1)
	s_cmp_lg_u32 s10, 0
	s_cselect_b32 s10, -1, 0
	s_or_b32 s2, s10, s2
	s_delay_alu instid0(SALU_CYCLE_1)
	s_and_b32 vcc_lo, exec_lo, s2
	s_cbranch_vccz .LBB21_17
; %bb.4:
	s_sub_i32 s2, 0, s12
	v_mov_b32_e32 v4, 0
	s_bfe_u32 s2, s2, 0x30001
	s_mov_b32 s11, exec_lo
	s_min_i32 s10, s2, s3
	s_delay_alu instid0(SALU_CYCLE_1)
	v_cmpx_gt_i32_e64 s10, v0
	s_cbranch_execz .LBB21_8
; %bb.5:
	v_dual_mov_b32 v4, 0 :: v_dual_lshlrev_b32 v1, 1, v0
	s_add_u32 s2, s8, s6
	s_addc_u32 s16, s9, s7
	s_add_u32 s2, s4, s2
	s_addc_u32 s16, s5, s16
	v_add_co_u32 v1, s2, s2, v1
	s_delay_alu instid0(VALU_DEP_1)
	v_add_co_ci_u32_e64 v2, null, s16, 0, s2
	v_mov_b32_e32 v3, v0
	s_mov_b32 s16, 0
	s_lshl_b32 s17, s14, 1
.LBB21_6:                               ; =>This Inner Loop Header: Depth=1
	global_load_u16 v5, v[1:2], off
	v_add_nc_u32_e32 v3, s14, v3
	v_add_co_u32 v1, vcc_lo, v1, s17
	v_add_co_ci_u32_e32 v2, vcc_lo, 0, v2, vcc_lo
	s_delay_alu instid0(VALU_DEP_3) | instskip(NEXT) | instid1(VALU_DEP_1)
	v_cmp_le_i32_e64 s2, s10, v3
	s_or_b32 s16, s2, s16
	s_waitcnt vmcnt(0)
	v_fma_mix_f32 v4, v5, v5, v4 op_sel_hi:[1,1,0]
	s_and_not1_b32 exec_lo, exec_lo, s16
	s_cbranch_execnz .LBB21_6
; %bb.7:
	s_or_b32 exec_lo, exec_lo, s16
.LBB21_8:
	s_delay_alu instid0(SALU_CYCLE_1)
	s_or_b32 exec_lo, exec_lo, s11
	s_sub_i32 s16, s3, s10
	s_ashr_i32 s11, s10, 31
	s_ashr_i32 s2, s16, 31
	s_mov_b32 s18, exec_lo
	s_lshr_b32 s2, s2, 29
	s_delay_alu instid0(SALU_CYCLE_1) | instskip(NEXT) | instid1(SALU_CYCLE_1)
	s_add_i32 s2, s16, s2
	s_ashr_i32 s17, s2, 3
	s_delay_alu instid0(SALU_CYCLE_1)
	v_cmpx_gt_i32_e64 s17, v0
	s_cbranch_execz .LBB21_12
; %bb.9:
	s_add_u32 s2, s8, s6
	s_addc_u32 s19, s9, s7
	s_lshl_b64 s[20:21], s[10:11], 1
	v_lshlrev_b32_e32 v1, 4, v0
	s_add_u32 s20, s4, s20
	s_addc_u32 s21, s5, s21
	s_add_u32 s2, s20, s2
	s_addc_u32 s19, s21, s19
	v_add_co_u32 v1, s2, s2, v1
	s_delay_alu instid0(VALU_DEP_1)
	v_add_co_ci_u32_e64 v2, null, s19, 0, s2
	v_mov_b32_e32 v3, v0
	s_mov_b32 s19, 0
	s_lshl_b32 s20, s14, 4
	.p2align	6
.LBB21_10:                              ; =>This Inner Loop Header: Depth=1
	global_load_b128 v[5:8], v[1:2], off
	v_add_nc_u32_e32 v3, s14, v3
	v_add_co_u32 v1, vcc_lo, v1, s20
	v_add_co_ci_u32_e32 v2, vcc_lo, 0, v2, vcc_lo
	s_delay_alu instid0(VALU_DEP_3) | instskip(NEXT) | instid1(VALU_DEP_1)
	v_cmp_le_i32_e64 s2, s17, v3
	s_or_b32 s19, s2, s19
	s_waitcnt vmcnt(0)
	v_fma_mix_f32 v4, v5, v5, v4 op_sel_hi:[1,1,0]
	s_delay_alu instid0(VALU_DEP_1) | instskip(NEXT) | instid1(VALU_DEP_1)
	v_fma_mix_f32 v4, v5, v5, v4 op_sel:[1,1,0] op_sel_hi:[1,1,0]
	v_fma_mix_f32 v4, v6, v6, v4 op_sel_hi:[1,1,0]
	s_delay_alu instid0(VALU_DEP_1) | instskip(NEXT) | instid1(VALU_DEP_1)
	v_fma_mix_f32 v4, v6, v6, v4 op_sel:[1,1,0] op_sel_hi:[1,1,0]
	;; [unrolled: 3-line block ×3, first 2 shown]
	v_fma_mix_f32 v4, v8, v8, v4 op_sel_hi:[1,1,0]
	s_delay_alu instid0(VALU_DEP_1)
	v_fma_mix_f32 v4, v8, v8, v4 op_sel:[1,1,0] op_sel_hi:[1,1,0]
	s_and_not1_b32 exec_lo, exec_lo, s19
	s_cbranch_execnz .LBB21_10
; %bb.11:
	s_or_b32 exec_lo, exec_lo, s19
.LBB21_12:
	s_delay_alu instid0(SALU_CYCLE_1) | instskip(SKIP_2) | instid1(VALU_DEP_1)
	s_or_b32 exec_lo, exec_lo, s18
	v_lshl_add_u32 v1, s17, 3, v0
	s_mov_b32 s17, exec_lo
	v_cmpx_gt_i32_e64 s16, v1
	s_cbranch_execz .LBB21_16
; %bb.13:
	v_ashrrev_i32_e32 v2, 31, v1
	s_add_u32 s2, s8, s6
	s_addc_u32 s18, s9, s7
	s_lshl_b64 s[10:11], s[10:11], 1
	s_delay_alu instid0(SALU_CYCLE_1)
	s_add_u32 s2, s2, s10
	v_lshlrev_b64 v[2:3], 1, v[1:2]
	s_addc_u32 s10, s18, s11
	s_add_u32 s2, s4, s2
	s_addc_u32 s10, s5, s10
	s_lshl_b32 s11, s14, 1
	s_delay_alu instid0(VALU_DEP_1)
	v_add_co_u32 v2, vcc_lo, s2, v2
	v_add_co_ci_u32_e32 v3, vcc_lo, s10, v3, vcc_lo
	s_mov_b32 s10, 0
.LBB21_14:                              ; =>This Inner Loop Header: Depth=1
	global_load_u16 v5, v[2:3], off
	v_add_nc_u32_e32 v1, s14, v1
	v_add_co_u32 v2, vcc_lo, v2, s11
	v_add_co_ci_u32_e32 v3, vcc_lo, 0, v3, vcc_lo
	s_delay_alu instid0(VALU_DEP_3) | instskip(NEXT) | instid1(VALU_DEP_1)
	v_cmp_le_i32_e64 s2, s16, v1
	s_or_b32 s10, s2, s10
	s_waitcnt vmcnt(0)
	v_fma_mix_f32 v4, v5, v5, v4 op_sel_hi:[1,1,0]
	s_and_not1_b32 exec_lo, exec_lo, s10
	s_cbranch_execnz .LBB21_14
; %bb.15:
	s_or_b32 exec_lo, exec_lo, s10
.LBB21_16:
	s_delay_alu instid0(SALU_CYCLE_1)
	s_or_b32 exec_lo, exec_lo, s17
	s_branch .LBB21_23
.LBB21_17:
                                        ; implicit-def: $vgpr4
	s_cbranch_execz .LBB21_23
; %bb.18:
	v_mov_b32_e32 v4, 0
	s_ashr_i32 s11, s3, 3
	s_mov_b32 s10, exec_lo
	v_cmpx_gt_i32_e64 s11, v0
	s_cbranch_execz .LBB21_22
; %bb.19:
	v_dual_mov_b32 v4, 0 :: v_dual_lshlrev_b32 v1, 4, v0
	s_add_u32 s2, s8, s6
	s_addc_u32 s6, s9, s7
	s_add_u32 s2, s4, s2
	s_addc_u32 s4, s5, s6
	v_add_co_u32 v1, s2, s2, v1
	s_delay_alu instid0(VALU_DEP_1)
	v_add_co_ci_u32_e64 v2, null, s4, 0, s2
	v_mov_b32_e32 v3, v0
	s_mov_b32 s4, 0
	s_lshl_b32 s5, s14, 4
	.p2align	6
.LBB21_20:                              ; =>This Inner Loop Header: Depth=1
	global_load_b128 v[5:8], v[1:2], off
	v_add_nc_u32_e32 v3, s14, v3
	v_add_co_u32 v1, vcc_lo, v1, s5
	v_add_co_ci_u32_e32 v2, vcc_lo, 0, v2, vcc_lo
	s_delay_alu instid0(VALU_DEP_3) | instskip(NEXT) | instid1(VALU_DEP_1)
	v_cmp_le_i32_e64 s2, s11, v3
	s_or_b32 s4, s2, s4
	s_waitcnt vmcnt(0)
	v_fma_mix_f32 v4, v5, v5, v4 op_sel_hi:[1,1,0]
	s_delay_alu instid0(VALU_DEP_1) | instskip(NEXT) | instid1(VALU_DEP_1)
	v_fma_mix_f32 v4, v5, v5, v4 op_sel:[1,1,0] op_sel_hi:[1,1,0]
	v_fma_mix_f32 v4, v6, v6, v4 op_sel_hi:[1,1,0]
	s_delay_alu instid0(VALU_DEP_1) | instskip(NEXT) | instid1(VALU_DEP_1)
	v_fma_mix_f32 v4, v6, v6, v4 op_sel:[1,1,0] op_sel_hi:[1,1,0]
	v_fma_mix_f32 v4, v7, v7, v4 op_sel_hi:[1,1,0]
	s_delay_alu instid0(VALU_DEP_1) | instskip(NEXT) | instid1(VALU_DEP_1)
	v_fma_mix_f32 v4, v7, v7, v4 op_sel:[1,1,0] op_sel_hi:[1,1,0]
	v_fma_mix_f32 v4, v8, v8, v4 op_sel_hi:[1,1,0]
	s_delay_alu instid0(VALU_DEP_1)
	v_fma_mix_f32 v4, v8, v8, v4 op_sel:[1,1,0] op_sel_hi:[1,1,0]
	s_and_not1_b32 exec_lo, exec_lo, s4
	s_cbranch_execnz .LBB21_20
; %bb.21:
	s_or_b32 exec_lo, exec_lo, s4
.LBB21_22:
	s_delay_alu instid0(SALU_CYCLE_1)
	s_or_b32 exec_lo, exec_lo, s10
.LBB21_23:
	v_mbcnt_lo_u32_b32 v1, -1, 0
	v_and_b32_e32 v3, 0x3e0, v0
	s_mov_b32 s2, exec_lo
	s_delay_alu instid0(VALU_DEP_2) | instskip(NEXT) | instid1(VALU_DEP_2)
	v_cmp_ne_u32_e32 vcc_lo, 31, v1
	v_sub_nc_u32_e64 v12, s14, v3 clamp
	v_add_nc_u32_e32 v3, 1, v1
	v_add_co_ci_u32_e32 v2, vcc_lo, 0, v1, vcc_lo
	v_cmp_gt_u32_e32 vcc_lo, 30, v1
	s_delay_alu instid0(VALU_DEP_2)
	v_lshlrev_b32_e32 v2, 2, v2
	v_cndmask_b32_e64 v6, 0, 1, vcc_lo
	v_cmp_lt_u32_e32 vcc_lo, v3, v12
	ds_bpermute_b32 v5, v2, v4
	s_waitcnt lgkmcnt(0)
	v_dual_add_f32 v7, v4, v5 :: v_dual_lshlrev_b32 v6, 1, v6
	s_delay_alu instid0(VALU_DEP_1) | instskip(NEXT) | instid1(VALU_DEP_2)
	v_cndmask_b32_e32 v7, v4, v7, vcc_lo
	v_add_lshl_u32 v5, v6, v1, 2
	v_cmp_gt_u32_e32 vcc_lo, 28, v1
	ds_bpermute_b32 v6, v5, v7
	v_cndmask_b32_e64 v4, 0, 1, vcc_lo
	s_delay_alu instid0(VALU_DEP_1) | instskip(SKIP_1) | instid1(VALU_DEP_1)
	v_lshlrev_b32_e32 v8, 2, v4
	v_add_nc_u32_e32 v4, 2, v1
	v_cmp_lt_u32_e32 vcc_lo, v4, v12
	s_waitcnt lgkmcnt(0)
	v_add_f32_e32 v9, v7, v6
	v_add_lshl_u32 v6, v8, v1, 2
	s_delay_alu instid0(VALU_DEP_2) | instskip(SKIP_2) | instid1(VALU_DEP_1)
	v_cndmask_b32_e32 v9, v7, v9, vcc_lo
	v_cmp_gt_u32_e32 vcc_lo, 24, v1
	v_cndmask_b32_e64 v7, 0, 1, vcc_lo
	v_lshlrev_b32_e32 v10, 3, v7
	ds_bpermute_b32 v8, v6, v9
	v_add_nc_u32_e32 v7, 4, v1
	s_delay_alu instid0(VALU_DEP_1) | instskip(SKIP_3) | instid1(VALU_DEP_2)
	v_cmp_lt_u32_e32 vcc_lo, v7, v12
	s_waitcnt lgkmcnt(0)
	v_add_f32_e32 v11, v9, v8
	v_add_lshl_u32 v8, v10, v1, 2
	v_cndmask_b32_e32 v11, v9, v11, vcc_lo
	v_cmp_gt_u32_e32 vcc_lo, 16, v1
	ds_bpermute_b32 v10, v8, v11
	v_cndmask_b32_e64 v9, 0, 1, vcc_lo
	s_delay_alu instid0(VALU_DEP_1) | instskip(SKIP_1) | instid1(VALU_DEP_1)
	v_lshlrev_b32_e32 v13, 4, v9
	v_add_nc_u32_e32 v9, 8, v1
	v_cmp_lt_u32_e32 vcc_lo, v9, v12
	s_waitcnt lgkmcnt(0)
	v_add_f32_e32 v14, v11, v10
	v_add_lshl_u32 v10, v13, v1, 2
	s_delay_alu instid0(VALU_DEP_2)
	v_cndmask_b32_e32 v13, v11, v14, vcc_lo
	v_add_nc_u32_e32 v11, 16, v1
	ds_bpermute_b32 v14, v10, v13
	v_cmp_lt_u32_e32 vcc_lo, v11, v12
	s_waitcnt lgkmcnt(0)
	v_add_f32_e32 v14, v13, v14
	s_delay_alu instid0(VALU_DEP_1)
	v_cndmask_b32_e32 v12, v13, v14, vcc_lo
	v_cmpx_eq_u32_e32 0, v1
	s_cbranch_execz .LBB21_25
; %bb.24:
	v_lshrrev_b32_e32 v13, 3, v0
	s_delay_alu instid0(VALU_DEP_1)
	v_and_b32_e32 v13, 0x7c, v13
	ds_store_b32 v13, v12
.LBB21_25:
	s_or_b32 exec_lo, exec_lo, s2
	s_delay_alu instid0(SALU_CYCLE_1)
	s_mov_b32 s2, exec_lo
	s_waitcnt lgkmcnt(0)
	s_barrier
	buffer_gl0_inv
	v_cmpx_gt_u32_e32 32, v0
	s_cbranch_execz .LBB21_27
; %bb.26:
	v_lshlrev_b32_e32 v1, 2, v1
	s_add_i32 s4, s14, 31
	s_delay_alu instid0(SALU_CYCLE_1) | instskip(NEXT) | instid1(SALU_CYCLE_1)
	s_lshr_b32 s4, s4, 5
	v_cmp_gt_u32_e32 vcc_lo, s4, v3
	ds_load_b32 v1, v1
	s_waitcnt lgkmcnt(0)
	ds_bpermute_b32 v2, v2, v1
	s_waitcnt lgkmcnt(0)
	v_add_f32_e32 v2, v1, v2
	s_delay_alu instid0(VALU_DEP_1) | instskip(SKIP_4) | instid1(VALU_DEP_1)
	v_cndmask_b32_e32 v1, v1, v2, vcc_lo
	v_cmp_gt_u32_e32 vcc_lo, s4, v4
	ds_bpermute_b32 v2, v5, v1
	s_waitcnt lgkmcnt(0)
	v_add_f32_e32 v2, v1, v2
	v_cndmask_b32_e32 v1, v1, v2, vcc_lo
	v_cmp_gt_u32_e32 vcc_lo, s4, v7
	ds_bpermute_b32 v2, v6, v1
	s_waitcnt lgkmcnt(0)
	v_add_f32_e32 v2, v1, v2
	s_delay_alu instid0(VALU_DEP_1) | instskip(SKIP_4) | instid1(VALU_DEP_1)
	v_cndmask_b32_e32 v1, v1, v2, vcc_lo
	v_cmp_gt_u32_e32 vcc_lo, s4, v9
	ds_bpermute_b32 v2, v8, v1
	s_waitcnt lgkmcnt(0)
	v_add_f32_e32 v2, v1, v2
	v_cndmask_b32_e32 v1, v1, v2, vcc_lo
	v_cmp_gt_u32_e32 vcc_lo, s4, v11
	ds_bpermute_b32 v2, v10, v1
	s_waitcnt lgkmcnt(0)
	v_add_f32_e32 v2, v1, v2
	s_delay_alu instid0(VALU_DEP_1)
	v_cndmask_b32_e32 v12, v1, v2, vcc_lo
.LBB21_27:
	s_or_b32 exec_lo, exec_lo, s2
	s_delay_alu instid0(SALU_CYCLE_1)
	s_mov_b32 s2, exec_lo
	v_cmpx_eq_u32_e32 0, v0
	s_cbranch_execz .LBB21_29
; %bb.28:
	v_cvt_f32_i32_e32 v1, s3
	s_load_b32 s4, s[0:1], 0x40
	s_delay_alu instid0(VALU_DEP_1) | instskip(SKIP_1) | instid1(VALU_DEP_2)
	v_div_scale_f32 v2, null, v1, v1, v12
	v_div_scale_f32 v5, vcc_lo, v12, v1, v12
	v_rcp_f32_e32 v3, v2
	s_waitcnt_depctr 0xfff
	v_fma_f32 v4, -v2, v3, 1.0
	s_delay_alu instid0(VALU_DEP_1) | instskip(NEXT) | instid1(VALU_DEP_1)
	v_fmac_f32_e32 v3, v4, v3
	v_mul_f32_e32 v4, v5, v3
	s_delay_alu instid0(VALU_DEP_1) | instskip(NEXT) | instid1(VALU_DEP_1)
	v_fma_f32 v6, -v2, v4, v5
	v_fmac_f32_e32 v4, v6, v3
	s_delay_alu instid0(VALU_DEP_1) | instskip(NEXT) | instid1(VALU_DEP_1)
	v_fma_f32 v2, -v2, v4, v5
	v_div_fmas_f32 v2, v2, v3, v4
	s_delay_alu instid0(VALU_DEP_1) | instskip(SKIP_1) | instid1(VALU_DEP_1)
	v_div_fixup_f32 v1, v2, v1, v12
	s_waitcnt lgkmcnt(0)
	v_add_f32_e32 v1, s4, v1
	s_delay_alu instid0(VALU_DEP_1) | instskip(SKIP_1) | instid1(VALU_DEP_2)
	v_mul_f32_e32 v2, 0x4b800000, v1
	v_cmp_gt_f32_e32 vcc_lo, 0x800000, v1
	v_cndmask_b32_e32 v1, v1, v2, vcc_lo
	s_delay_alu instid0(VALU_DEP_1) | instskip(SKIP_2) | instid1(VALU_DEP_1)
	v_rsq_f32_e32 v1, v1
	s_waitcnt_depctr 0xfff
	v_mul_f32_e32 v2, 0x45800000, v1
	v_dual_cndmask_b32 v1, v1, v2 :: v_dual_mov_b32 v2, 0
	ds_store_b32 v2, v1 offset:128
.LBB21_29:
	s_or_b32 exec_lo, exec_lo, s2
	s_ashr_i32 s2, s3, 31
	s_waitcnt lgkmcnt(0)
	s_lshr_b32 s2, s2, 29
	s_barrier
	s_add_i32 s2, s3, s2
	buffer_gl0_inv
	s_ashr_i32 s4, s2, 3
	s_mov_b32 s2, exec_lo
	v_cmpx_gt_i32_e64 s4, v0
	s_cbranch_execz .LBB21_32
; %bb.30:
	v_dual_mov_b32 v1, 0 :: v_dual_lshlrev_b32 v2, 4, v0
	s_clause 0x1
	s_load_b64 s[6:7], s[0:1], 0x0
	s_load_b64 s[0:1], s[0:1], 0x38
	s_mul_i32 s2, s15, s3
	s_mov_b32 s3, 0
	ds_load_b32 v1, v1 offset:128
	s_lshl_b64 s[8:9], s[2:3], 1
	s_waitcnt lgkmcnt(0)
	s_add_u32 s2, s6, s8
	s_addc_u32 s5, s7, s9
	s_lshl_b32 s6, s14, 4
.LBB21_31:                              ; =>This Inner Loop Header: Depth=1
	v_add_co_u32 v3, s7, s12, v2
	s_delay_alu instid0(VALU_DEP_1) | instskip(SKIP_1) | instid1(VALU_DEP_1)
	v_add_co_ci_u32_e64 v4, null, s13, 0, s7
	v_add_co_u32 v7, s7, s0, v2
	v_add_co_ci_u32_e64 v8, null, s1, 0, s7
	global_load_b128 v[3:6], v[3:4], off
	v_add_nc_u32_e32 v0, s14, v0
	v_add_co_u32 v11, s7, s2, v2
	global_load_b128 v[7:10], v[7:8], off
	s_add_u32 s2, s2, s6
	v_add_co_ci_u32_e64 v12, null, s5, 0, s7
	s_addc_u32 s5, s5, 0
	v_cmp_le_i32_e32 vcc_lo, s4, v0
	s_add_u32 s12, s12, s6
	s_addc_u32 s13, s13, 0
	s_add_u32 s0, s0, s6
	s_addc_u32 s1, s1, 0
	s_or_b32 s3, vcc_lo, s3
	s_waitcnt vmcnt(1)
	v_fma_mixlo_f16 v13, v1, v3, 0 op_sel_hi:[0,1,0]
	v_fma_mixlo_f16 v14, v1, v4, 0 op_sel_hi:[0,1,0]
	v_fma_mixlo_f16 v15, v1, v5, 0 op_sel_hi:[0,1,0]
	v_fma_mixlo_f16 v16, v1, v6, 0 op_sel_hi:[0,1,0]
	s_delay_alu instid0(VALU_DEP_4) | instskip(NEXT) | instid1(VALU_DEP_4)
	v_fma_mixhi_f16 v13, v1, v3, 0 op_sel:[0,1,0] op_sel_hi:[0,1,0]
	v_fma_mixhi_f16 v14, v1, v4, 0 op_sel:[0,1,0] op_sel_hi:[0,1,0]
	s_delay_alu instid0(VALU_DEP_4) | instskip(NEXT) | instid1(VALU_DEP_4)
	v_fma_mixhi_f16 v15, v1, v5, 0 op_sel:[0,1,0] op_sel_hi:[0,1,0]
	v_fma_mixhi_f16 v16, v1, v6, 0 op_sel:[0,1,0] op_sel_hi:[0,1,0]
	s_waitcnt vmcnt(0)
	v_pk_mul_f16 v3, v7, v13
	v_pk_mul_f16 v4, v8, v14
	;; [unrolled: 1-line block ×4, first 2 shown]
	global_store_b128 v[11:12], v[3:6], off
	s_and_not1_b32 exec_lo, exec_lo, s3
	s_cbranch_execnz .LBB21_31
.LBB21_32:
	s_nop 0
	s_sendmsg sendmsg(MSG_DEALLOC_VGPRS)
	s_endpgm
.LBB21_33:
                                        ; implicit-def: $sgpr10_sgpr11
	s_branch .LBB21_2
	.section	.rodata,"a",@progbits
	.p2align	6, 0x0
	.amdhsa_kernel _ZN4vllm15rms_norm_kernelIN3c104HalfELi8ELi3EEEvPT_PKS3_lllllS6_fii
		.amdhsa_group_segment_fixed_size 132
		.amdhsa_private_segment_fixed_size 0
		.amdhsa_kernarg_size 336
		.amdhsa_user_sgpr_count 15
		.amdhsa_user_sgpr_dispatch_ptr 0
		.amdhsa_user_sgpr_queue_ptr 0
		.amdhsa_user_sgpr_kernarg_segment_ptr 1
		.amdhsa_user_sgpr_dispatch_id 0
		.amdhsa_user_sgpr_private_segment_size 0
		.amdhsa_wavefront_size32 1
		.amdhsa_uses_dynamic_stack 0
		.amdhsa_enable_private_segment 0
		.amdhsa_system_sgpr_workgroup_id_x 1
		.amdhsa_system_sgpr_workgroup_id_y 0
		.amdhsa_system_sgpr_workgroup_id_z 0
		.amdhsa_system_sgpr_workgroup_info 0
		.amdhsa_system_vgpr_workitem_id 0
		.amdhsa_next_free_vgpr 17
		.amdhsa_next_free_sgpr 22
		.amdhsa_reserve_vcc 1
		.amdhsa_float_round_mode_32 0
		.amdhsa_float_round_mode_16_64 0
		.amdhsa_float_denorm_mode_32 3
		.amdhsa_float_denorm_mode_16_64 3
		.amdhsa_dx10_clamp 1
		.amdhsa_ieee_mode 1
		.amdhsa_fp16_overflow 0
		.amdhsa_workgroup_processor_mode 1
		.amdhsa_memory_ordered 1
		.amdhsa_forward_progress 0
		.amdhsa_shared_vgpr_count 0
		.amdhsa_exception_fp_ieee_invalid_op 0
		.amdhsa_exception_fp_denorm_src 0
		.amdhsa_exception_fp_ieee_div_zero 0
		.amdhsa_exception_fp_ieee_overflow 0
		.amdhsa_exception_fp_ieee_underflow 0
		.amdhsa_exception_fp_ieee_inexact 0
		.amdhsa_exception_int_div_zero 0
	.end_amdhsa_kernel
	.section	.text._ZN4vllm15rms_norm_kernelIN3c104HalfELi8ELi3EEEvPT_PKS3_lllllS6_fii,"axG",@progbits,_ZN4vllm15rms_norm_kernelIN3c104HalfELi8ELi3EEEvPT_PKS3_lllllS6_fii,comdat
.Lfunc_end21:
	.size	_ZN4vllm15rms_norm_kernelIN3c104HalfELi8ELi3EEEvPT_PKS3_lllllS6_fii, .Lfunc_end21-_ZN4vllm15rms_norm_kernelIN3c104HalfELi8ELi3EEEvPT_PKS3_lllllS6_fii
                                        ; -- End function
	.section	.AMDGPU.csdata,"",@progbits
; Kernel info:
; codeLenInByte = 2848
; NumSgprs: 24
; NumVgprs: 17
; ScratchSize: 0
; MemoryBound: 0
; FloatMode: 240
; IeeeMode: 1
; LDSByteSize: 132 bytes/workgroup (compile time only)
; SGPRBlocks: 2
; VGPRBlocks: 2
; NumSGPRsForWavesPerEU: 24
; NumVGPRsForWavesPerEU: 17
; Occupancy: 16
; WaveLimiterHint : 0
; COMPUTE_PGM_RSRC2:SCRATCH_EN: 0
; COMPUTE_PGM_RSRC2:USER_SGPR: 15
; COMPUTE_PGM_RSRC2:TRAP_HANDLER: 0
; COMPUTE_PGM_RSRC2:TGID_X_EN: 1
; COMPUTE_PGM_RSRC2:TGID_Y_EN: 0
; COMPUTE_PGM_RSRC2:TGID_Z_EN: 0
; COMPUTE_PGM_RSRC2:TIDIG_COMP_CNT: 0
	.section	.text._ZN4vllm15rms_norm_kernelIN3c104HalfELi4ELi3EEEvPT_PKS3_lllllS6_fii,"axG",@progbits,_ZN4vllm15rms_norm_kernelIN3c104HalfELi4ELi3EEEvPT_PKS3_lllllS6_fii,comdat
	.protected	_ZN4vllm15rms_norm_kernelIN3c104HalfELi4ELi3EEEvPT_PKS3_lllllS6_fii ; -- Begin function _ZN4vllm15rms_norm_kernelIN3c104HalfELi4ELi3EEEvPT_PKS3_lllllS6_fii
	.globl	_ZN4vllm15rms_norm_kernelIN3c104HalfELi4ELi3EEEvPT_PKS3_lllllS6_fii
	.p2align	8
	.type	_ZN4vllm15rms_norm_kernelIN3c104HalfELi4ELi3EEEvPT_PKS3_lllllS6_fii,@function
_ZN4vllm15rms_norm_kernelIN3c104HalfELi4ELi3EEEvPT_PKS3_lllllS6_fii: ; @_ZN4vllm15rms_norm_kernelIN3c104HalfELi4ELi3EEEvPT_PKS3_lllllS6_fii
; %bb.0:
	s_clause 0x1
	s_load_b64 s[2:3], s[0:1], 0x28
	s_load_b64 s[4:5], s[0:1], 0x8
	s_mov_b32 s6, 0
	s_waitcnt lgkmcnt(0)
	s_mov_b32 s7, s3
	s_delay_alu instid0(SALU_CYCLE_1)
	s_cmp_lg_u64 s[6:7], 0
	s_cbranch_scc0 .LBB22_33
; %bb.1:
	s_ashr_i32 s8, s3, 31
	s_delay_alu instid0(SALU_CYCLE_1) | instskip(SKIP_2) | instid1(SALU_CYCLE_1)
	s_add_u32 s10, s2, s8
	s_mov_b32 s9, s8
	s_addc_u32 s11, s3, s8
	s_xor_b64 s[10:11], s[10:11], s[8:9]
	s_delay_alu instid0(SALU_CYCLE_1) | instskip(SKIP_3) | instid1(VALU_DEP_1)
	v_cvt_f32_u32_e32 v1, s10
	v_cvt_f32_u32_e32 v2, s11
	s_sub_u32 s12, 0, s10
	s_subb_u32 s13, 0, s11
	v_fmamk_f32 v1, v2, 0x4f800000, v1
	s_delay_alu instid0(VALU_DEP_1) | instskip(SKIP_2) | instid1(VALU_DEP_1)
	v_rcp_f32_e32 v1, v1
	s_waitcnt_depctr 0xfff
	v_mul_f32_e32 v1, 0x5f7ffffc, v1
	v_mul_f32_e32 v2, 0x2f800000, v1
	s_delay_alu instid0(VALU_DEP_1) | instskip(NEXT) | instid1(VALU_DEP_1)
	v_trunc_f32_e32 v2, v2
	v_fmamk_f32 v1, v2, 0xcf800000, v1
	v_cvt_u32_f32_e32 v2, v2
	s_delay_alu instid0(VALU_DEP_2) | instskip(NEXT) | instid1(VALU_DEP_2)
	v_cvt_u32_f32_e32 v1, v1
	v_readfirstlane_b32 s3, v2
	s_delay_alu instid0(VALU_DEP_2) | instskip(NEXT) | instid1(VALU_DEP_2)
	v_readfirstlane_b32 s7, v1
	s_mul_i32 s14, s12, s3
	s_delay_alu instid0(VALU_DEP_1)
	s_mul_hi_u32 s17, s12, s7
	s_mul_i32 s16, s13, s7
	s_add_i32 s14, s17, s14
	s_mul_i32 s18, s12, s7
	s_add_i32 s14, s14, s16
	s_mul_hi_u32 s17, s7, s18
	s_mul_hi_u32 s19, s3, s18
	s_mul_i32 s16, s3, s18
	s_mul_hi_u32 s18, s7, s14
	s_mul_i32 s7, s7, s14
	s_mul_hi_u32 s20, s3, s14
	s_add_u32 s7, s17, s7
	s_addc_u32 s17, 0, s18
	s_add_u32 s7, s7, s16
	s_mul_i32 s14, s3, s14
	s_addc_u32 s7, s17, s19
	s_addc_u32 s16, s20, 0
	s_add_u32 s7, s7, s14
	s_addc_u32 s14, 0, s16
	v_add_co_u32 v1, s7, v1, s7
	s_delay_alu instid0(VALU_DEP_1) | instskip(SKIP_1) | instid1(VALU_DEP_1)
	s_cmp_lg_u32 s7, 0
	s_addc_u32 s3, s3, s14
	v_readfirstlane_b32 s7, v1
	s_mul_i32 s14, s12, s3
	s_delay_alu instid0(VALU_DEP_1)
	s_mul_hi_u32 s16, s12, s7
	s_mul_i32 s13, s13, s7
	s_add_i32 s14, s16, s14
	s_mul_i32 s12, s12, s7
	s_add_i32 s14, s14, s13
	s_mul_hi_u32 s16, s3, s12
	s_mul_i32 s17, s3, s12
	s_mul_hi_u32 s12, s7, s12
	s_mul_hi_u32 s18, s7, s14
	s_mul_i32 s7, s7, s14
	s_mul_hi_u32 s13, s3, s14
	s_add_u32 s7, s12, s7
	s_addc_u32 s12, 0, s18
	s_add_u32 s7, s7, s17
	s_mul_i32 s14, s3, s14
	s_addc_u32 s7, s12, s16
	s_addc_u32 s12, s13, 0
	s_add_u32 s7, s7, s14
	s_addc_u32 s12, 0, s12
	v_add_co_u32 v1, s7, v1, s7
	s_delay_alu instid0(VALU_DEP_1) | instskip(SKIP_1) | instid1(VALU_DEP_1)
	s_cmp_lg_u32 s7, 0
	s_addc_u32 s3, s3, s12
	v_readfirstlane_b32 s7, v1
	s_mul_i32 s12, s15, s3
	s_mul_hi_u32 s3, s15, s3
	s_delay_alu instid0(VALU_DEP_1) | instskip(NEXT) | instid1(SALU_CYCLE_1)
	s_mul_hi_u32 s7, s15, s7
	s_add_u32 s7, s7, s12
	s_addc_u32 s3, 0, s3
	s_add_u32 s7, s7, 0
	s_addc_u32 s3, s3, 0
	s_addc_u32 s7, 0, 0
	s_add_u32 s3, s3, 0
	s_addc_u32 s7, 0, s7
	s_mul_hi_u32 s12, s10, s3
	s_mul_i32 s14, s10, s7
	s_mul_i32 s16, s10, s3
	s_add_i32 s12, s12, s14
	v_sub_co_u32 v1, s14, s15, s16
	s_mul_i32 s13, s11, s3
	s_delay_alu instid0(SALU_CYCLE_1) | instskip(NEXT) | instid1(VALU_DEP_1)
	s_add_i32 s12, s12, s13
	v_sub_co_u32 v2, s16, v1, s10
	s_sub_i32 s13, 0, s12
	s_cmp_lg_u32 s14, 0
	s_subb_u32 s13, s13, s11
	s_cmp_lg_u32 s16, 0
	v_readfirstlane_b32 s16, v2
	s_subb_u32 s13, s13, 0
	s_delay_alu instid0(SALU_CYCLE_1) | instskip(SKIP_1) | instid1(VALU_DEP_1)
	s_cmp_ge_u32 s13, s11
	s_cselect_b32 s17, -1, 0
	s_cmp_ge_u32 s16, s10
	s_cselect_b32 s16, -1, 0
	s_cmp_eq_u32 s13, s11
	s_cselect_b32 s13, s16, s17
	s_add_u32 s16, s3, 1
	s_addc_u32 s17, s7, 0
	s_add_u32 s18, s3, 2
	s_addc_u32 s19, s7, 0
	s_cmp_lg_u32 s13, 0
	s_cselect_b32 s13, s18, s16
	s_cselect_b32 s16, s19, s17
	s_cmp_lg_u32 s14, 0
	v_readfirstlane_b32 s14, v1
	s_subb_u32 s12, 0, s12
	s_delay_alu instid0(SALU_CYCLE_1) | instskip(SKIP_1) | instid1(VALU_DEP_1)
	s_cmp_ge_u32 s12, s11
	s_cselect_b32 s17, -1, 0
	s_cmp_ge_u32 s14, s10
	s_cselect_b32 s10, -1, 0
	s_cmp_eq_u32 s12, s11
	s_cselect_b32 s10, s10, s17
	s_delay_alu instid0(SALU_CYCLE_1) | instskip(SKIP_2) | instid1(SALU_CYCLE_1)
	s_cmp_lg_u32 s10, 0
	s_cselect_b32 s11, s16, s7
	s_cselect_b32 s10, s13, s3
	s_xor_b64 s[10:11], s[10:11], s[8:9]
	s_delay_alu instid0(SALU_CYCLE_1)
	s_sub_u32 s10, s10, s8
	s_subb_u32 s11, s11, s8
	s_and_not1_b32 vcc_lo, exec_lo, s6
	s_cbranch_vccnz .LBB22_3
.LBB22_2:
	v_cvt_f32_u32_e32 v1, s2
	s_sub_i32 s6, 0, s2
	s_mov_b32 s11, 0
	s_delay_alu instid0(VALU_DEP_1) | instskip(SKIP_2) | instid1(VALU_DEP_1)
	v_rcp_iflag_f32_e32 v1, v1
	s_waitcnt_depctr 0xfff
	v_mul_f32_e32 v1, 0x4f7ffffe, v1
	v_cvt_u32_f32_e32 v1, v1
	s_delay_alu instid0(VALU_DEP_1) | instskip(NEXT) | instid1(VALU_DEP_1)
	v_readfirstlane_b32 s3, v1
	s_mul_i32 s6, s6, s3
	s_delay_alu instid0(SALU_CYCLE_1) | instskip(NEXT) | instid1(SALU_CYCLE_1)
	s_mul_hi_u32 s6, s3, s6
	s_add_i32 s3, s3, s6
	s_delay_alu instid0(SALU_CYCLE_1) | instskip(NEXT) | instid1(SALU_CYCLE_1)
	s_mul_hi_u32 s3, s15, s3
	s_mul_i32 s6, s3, s2
	s_add_i32 s7, s3, 1
	s_sub_i32 s6, s15, s6
	s_delay_alu instid0(SALU_CYCLE_1)
	s_sub_i32 s8, s6, s2
	s_cmp_ge_u32 s6, s2
	s_cselect_b32 s3, s7, s3
	s_cselect_b32 s6, s8, s6
	s_add_i32 s7, s3, 1
	s_cmp_ge_u32 s6, s2
	s_cselect_b32 s10, s7, s3
.LBB22_3:
	s_clause 0x2
	s_load_b128 s[16:19], s[0:1], 0x10
	s_load_b32 s3, s[0:1], 0x48
	s_load_b32 s12, s[0:1], 0x5c
	s_mul_i32 s2, s10, s2
	s_bfe_i64 s[6:7], s[10:11], 0x200000
	s_sub_i32 s2, s15, s2
	s_delay_alu instid0(SALU_CYCLE_1)
	s_ashr_i32 s8, s2, 31
	s_waitcnt lgkmcnt(0)
	s_mul_i32 s9, s10, s19
	s_mul_hi_u32 s11, s10, s18
	s_mul_i32 s7, s7, s18
	s_mul_i32 s6, s10, s18
	;; [unrolled: 1-line block ×3, first 2 shown]
	s_mul_hi_u32 s13, s2, s16
	s_mul_i32 s14, s8, s16
	s_mul_i32 s8, s2, s16
	s_add_i32 s2, s11, s9
	s_add_i32 s9, s13, s10
	;; [unrolled: 1-line block ×4, first 2 shown]
	s_lshl_b64 s[6:7], s[6:7], 1
	s_lshl_b64 s[8:9], s[8:9], 1
	s_add_u32 s2, s4, s6
	s_mov_b32 s11, 0
	s_add_u32 s2, s2, s8
	s_and_b32 s12, s12, 0xffff
	s_and_b32 s10, s2, 7
	s_delay_alu instid0(SALU_CYCLE_1) | instskip(SKIP_2) | instid1(SALU_CYCLE_1)
	s_cmp_lg_u64 s[10:11], 0
	s_cselect_b32 s10, -1, 0
	s_and_b32 s11, s3, 3
	s_cmp_lg_u32 s11, 0
	s_cselect_b32 s11, -1, 0
	s_delay_alu instid0(SALU_CYCLE_1) | instskip(NEXT) | instid1(SALU_CYCLE_1)
	s_or_b32 s10, s11, s10
	s_and_b32 vcc_lo, exec_lo, s10
	s_cbranch_vccz .LBB22_17
; %bb.4:
	s_sub_i32 s2, 0, s2
	v_mov_b32_e32 v4, 0
	s_bfe_u32 s2, s2, 0x20001
	s_mov_b32 s11, exec_lo
	s_min_i32 s10, s2, s3
	s_delay_alu instid0(SALU_CYCLE_1)
	v_cmpx_gt_i32_e64 s10, v0
	s_cbranch_execz .LBB22_8
; %bb.5:
	v_dual_mov_b32 v4, 0 :: v_dual_lshlrev_b32 v1, 1, v0
	s_add_u32 s2, s8, s6
	s_addc_u32 s13, s9, s7
	s_add_u32 s2, s4, s2
	s_addc_u32 s13, s5, s13
	v_add_co_u32 v1, s2, s2, v1
	s_delay_alu instid0(VALU_DEP_1)
	v_add_co_ci_u32_e64 v2, null, s13, 0, s2
	v_mov_b32_e32 v3, v0
	s_mov_b32 s13, 0
	s_lshl_b32 s14, s12, 1
.LBB22_6:                               ; =>This Inner Loop Header: Depth=1
	global_load_u16 v5, v[1:2], off
	v_add_nc_u32_e32 v3, s12, v3
	v_add_co_u32 v1, vcc_lo, v1, s14
	v_add_co_ci_u32_e32 v2, vcc_lo, 0, v2, vcc_lo
	s_delay_alu instid0(VALU_DEP_3) | instskip(NEXT) | instid1(VALU_DEP_1)
	v_cmp_le_i32_e64 s2, s10, v3
	s_or_b32 s13, s2, s13
	s_waitcnt vmcnt(0)
	v_fma_mix_f32 v4, v5, v5, v4 op_sel_hi:[1,1,0]
	s_and_not1_b32 exec_lo, exec_lo, s13
	s_cbranch_execnz .LBB22_6
; %bb.7:
	s_or_b32 exec_lo, exec_lo, s13
.LBB22_8:
	s_delay_alu instid0(SALU_CYCLE_1)
	s_or_b32 exec_lo, exec_lo, s11
	s_sub_i32 s13, s3, s10
	s_ashr_i32 s11, s10, 31
	s_ashr_i32 s2, s13, 31
	s_mov_b32 s16, exec_lo
	s_lshr_b32 s2, s2, 30
	s_delay_alu instid0(SALU_CYCLE_1) | instskip(NEXT) | instid1(SALU_CYCLE_1)
	s_add_i32 s2, s13, s2
	s_ashr_i32 s14, s2, 2
	s_delay_alu instid0(SALU_CYCLE_1)
	v_cmpx_gt_i32_e64 s14, v0
	s_cbranch_execz .LBB22_12
; %bb.9:
	s_add_u32 s2, s8, s6
	s_addc_u32 s17, s9, s7
	s_lshl_b64 s[18:19], s[10:11], 1
	v_lshlrev_b32_e32 v1, 3, v0
	s_add_u32 s18, s4, s18
	s_addc_u32 s19, s5, s19
	s_add_u32 s2, s18, s2
	s_addc_u32 s17, s19, s17
	v_add_co_u32 v1, s2, s2, v1
	s_delay_alu instid0(VALU_DEP_1)
	v_add_co_ci_u32_e64 v2, null, s17, 0, s2
	v_mov_b32_e32 v3, v0
	s_mov_b32 s17, 0
	s_lshl_b32 s18, s12, 3
	.p2align	6
.LBB22_10:                              ; =>This Inner Loop Header: Depth=1
	global_load_b64 v[5:6], v[1:2], off
	v_add_nc_u32_e32 v3, s12, v3
	v_add_co_u32 v1, vcc_lo, v1, s18
	v_add_co_ci_u32_e32 v2, vcc_lo, 0, v2, vcc_lo
	s_delay_alu instid0(VALU_DEP_3) | instskip(NEXT) | instid1(VALU_DEP_1)
	v_cmp_le_i32_e64 s2, s14, v3
	s_or_b32 s17, s2, s17
	s_waitcnt vmcnt(0)
	v_fma_mix_f32 v4, v5, v5, v4 op_sel_hi:[1,1,0]
	s_delay_alu instid0(VALU_DEP_1) | instskip(NEXT) | instid1(VALU_DEP_1)
	v_fma_mix_f32 v4, v5, v5, v4 op_sel:[1,1,0] op_sel_hi:[1,1,0]
	v_fma_mix_f32 v4, v6, v6, v4 op_sel_hi:[1,1,0]
	s_delay_alu instid0(VALU_DEP_1)
	v_fma_mix_f32 v4, v6, v6, v4 op_sel:[1,1,0] op_sel_hi:[1,1,0]
	s_and_not1_b32 exec_lo, exec_lo, s17
	s_cbranch_execnz .LBB22_10
; %bb.11:
	s_or_b32 exec_lo, exec_lo, s17
.LBB22_12:
	s_delay_alu instid0(SALU_CYCLE_1) | instskip(SKIP_2) | instid1(VALU_DEP_1)
	s_or_b32 exec_lo, exec_lo, s16
	v_lshl_add_u32 v1, s14, 2, v0
	s_mov_b32 s14, exec_lo
	v_cmpx_gt_i32_e64 s13, v1
	s_cbranch_execz .LBB22_16
; %bb.13:
	v_ashrrev_i32_e32 v2, 31, v1
	s_add_u32 s2, s8, s6
	s_addc_u32 s16, s9, s7
	s_lshl_b64 s[10:11], s[10:11], 1
	s_delay_alu instid0(SALU_CYCLE_1)
	s_add_u32 s2, s2, s10
	v_lshlrev_b64 v[2:3], 1, v[1:2]
	s_addc_u32 s10, s16, s11
	s_add_u32 s2, s4, s2
	s_addc_u32 s10, s5, s10
	s_lshl_b32 s11, s12, 1
	s_delay_alu instid0(VALU_DEP_1)
	v_add_co_u32 v2, vcc_lo, s2, v2
	v_add_co_ci_u32_e32 v3, vcc_lo, s10, v3, vcc_lo
	s_mov_b32 s10, 0
.LBB22_14:                              ; =>This Inner Loop Header: Depth=1
	global_load_u16 v5, v[2:3], off
	v_add_nc_u32_e32 v1, s12, v1
	v_add_co_u32 v2, vcc_lo, v2, s11
	v_add_co_ci_u32_e32 v3, vcc_lo, 0, v3, vcc_lo
	s_delay_alu instid0(VALU_DEP_3) | instskip(NEXT) | instid1(VALU_DEP_1)
	v_cmp_le_i32_e64 s2, s13, v1
	s_or_b32 s10, s2, s10
	s_waitcnt vmcnt(0)
	v_fma_mix_f32 v4, v5, v5, v4 op_sel_hi:[1,1,0]
	s_and_not1_b32 exec_lo, exec_lo, s10
	s_cbranch_execnz .LBB22_14
; %bb.15:
	s_or_b32 exec_lo, exec_lo, s10
.LBB22_16:
	s_delay_alu instid0(SALU_CYCLE_1)
	s_or_b32 exec_lo, exec_lo, s14
	s_branch .LBB22_23
.LBB22_17:
                                        ; implicit-def: $vgpr4
	s_cbranch_execz .LBB22_23
; %bb.18:
	v_mov_b32_e32 v4, 0
	s_ashr_i32 s11, s3, 2
	s_mov_b32 s10, exec_lo
	v_cmpx_gt_i32_e64 s11, v0
	s_cbranch_execz .LBB22_22
; %bb.19:
	v_dual_mov_b32 v4, 0 :: v_dual_lshlrev_b32 v1, 3, v0
	s_add_u32 s2, s8, s6
	s_addc_u32 s13, s9, s7
	s_add_u32 s2, s4, s2
	s_addc_u32 s13, s5, s13
	v_add_co_u32 v1, s2, s2, v1
	s_delay_alu instid0(VALU_DEP_1) | instskip(SKIP_1) | instid1(VALU_DEP_3)
	v_add_co_ci_u32_e64 v2, null, s13, 0, s2
	v_mov_b32_e32 v3, v0
	v_add_co_u32 v1, vcc_lo, v1, 4
	s_delay_alu instid0(VALU_DEP_3)
	v_add_co_ci_u32_e32 v2, vcc_lo, 0, v2, vcc_lo
	s_mov_b32 s13, 0
	s_lshl_b32 s14, s12, 3
	.p2align	6
.LBB22_20:                              ; =>This Inner Loop Header: Depth=1
	global_load_b64 v[5:6], v[1:2], off offset:-4
	v_add_nc_u32_e32 v3, s12, v3
	v_add_co_u32 v1, vcc_lo, v1, s14
	v_add_co_ci_u32_e32 v2, vcc_lo, 0, v2, vcc_lo
	s_delay_alu instid0(VALU_DEP_3) | instskip(NEXT) | instid1(VALU_DEP_1)
	v_cmp_le_i32_e64 s2, s11, v3
	s_or_b32 s13, s2, s13
	s_waitcnt vmcnt(0)
	v_fma_mix_f32 v4, v5, v5, v4 op_sel_hi:[1,1,0]
	s_delay_alu instid0(VALU_DEP_1) | instskip(NEXT) | instid1(VALU_DEP_1)
	v_fma_mix_f32 v4, v5, v5, v4 op_sel:[1,1,0] op_sel_hi:[1,1,0]
	v_fma_mix_f32 v4, v6, v6, v4 op_sel_hi:[1,1,0]
	s_delay_alu instid0(VALU_DEP_1)
	v_fma_mix_f32 v4, v6, v6, v4 op_sel:[1,1,0] op_sel_hi:[1,1,0]
	s_and_not1_b32 exec_lo, exec_lo, s13
	s_cbranch_execnz .LBB22_20
; %bb.21:
	s_or_b32 exec_lo, exec_lo, s13
.LBB22_22:
	s_delay_alu instid0(SALU_CYCLE_1)
	s_or_b32 exec_lo, exec_lo, s10
.LBB22_23:
	v_mbcnt_lo_u32_b32 v1, -1, 0
	v_and_b32_e32 v3, 0x3e0, v0
	s_mov_b32 s2, exec_lo
	s_delay_alu instid0(VALU_DEP_2) | instskip(NEXT) | instid1(VALU_DEP_2)
	v_cmp_ne_u32_e32 vcc_lo, 31, v1
	v_sub_nc_u32_e64 v12, s12, v3 clamp
	v_add_nc_u32_e32 v3, 1, v1
	v_add_co_ci_u32_e32 v2, vcc_lo, 0, v1, vcc_lo
	v_cmp_gt_u32_e32 vcc_lo, 30, v1
	s_delay_alu instid0(VALU_DEP_2)
	v_lshlrev_b32_e32 v2, 2, v2
	v_cndmask_b32_e64 v6, 0, 1, vcc_lo
	v_cmp_lt_u32_e32 vcc_lo, v3, v12
	ds_bpermute_b32 v5, v2, v4
	s_waitcnt lgkmcnt(0)
	v_dual_add_f32 v7, v4, v5 :: v_dual_lshlrev_b32 v6, 1, v6
	s_delay_alu instid0(VALU_DEP_1) | instskip(NEXT) | instid1(VALU_DEP_2)
	v_cndmask_b32_e32 v7, v4, v7, vcc_lo
	v_add_lshl_u32 v5, v6, v1, 2
	v_cmp_gt_u32_e32 vcc_lo, 28, v1
	ds_bpermute_b32 v6, v5, v7
	v_cndmask_b32_e64 v4, 0, 1, vcc_lo
	s_delay_alu instid0(VALU_DEP_1) | instskip(SKIP_1) | instid1(VALU_DEP_1)
	v_lshlrev_b32_e32 v8, 2, v4
	v_add_nc_u32_e32 v4, 2, v1
	v_cmp_lt_u32_e32 vcc_lo, v4, v12
	s_waitcnt lgkmcnt(0)
	v_add_f32_e32 v9, v7, v6
	v_add_lshl_u32 v6, v8, v1, 2
	s_delay_alu instid0(VALU_DEP_2) | instskip(SKIP_2) | instid1(VALU_DEP_1)
	v_cndmask_b32_e32 v9, v7, v9, vcc_lo
	v_cmp_gt_u32_e32 vcc_lo, 24, v1
	v_cndmask_b32_e64 v7, 0, 1, vcc_lo
	v_lshlrev_b32_e32 v10, 3, v7
	ds_bpermute_b32 v8, v6, v9
	v_add_nc_u32_e32 v7, 4, v1
	s_delay_alu instid0(VALU_DEP_1) | instskip(SKIP_3) | instid1(VALU_DEP_2)
	v_cmp_lt_u32_e32 vcc_lo, v7, v12
	s_waitcnt lgkmcnt(0)
	v_add_f32_e32 v11, v9, v8
	v_add_lshl_u32 v8, v10, v1, 2
	v_cndmask_b32_e32 v11, v9, v11, vcc_lo
	v_cmp_gt_u32_e32 vcc_lo, 16, v1
	ds_bpermute_b32 v10, v8, v11
	v_cndmask_b32_e64 v9, 0, 1, vcc_lo
	s_delay_alu instid0(VALU_DEP_1) | instskip(SKIP_1) | instid1(VALU_DEP_1)
	v_lshlrev_b32_e32 v13, 4, v9
	v_add_nc_u32_e32 v9, 8, v1
	v_cmp_lt_u32_e32 vcc_lo, v9, v12
	s_waitcnt lgkmcnt(0)
	v_add_f32_e32 v14, v11, v10
	v_add_lshl_u32 v10, v13, v1, 2
	s_delay_alu instid0(VALU_DEP_2)
	v_cndmask_b32_e32 v13, v11, v14, vcc_lo
	v_add_nc_u32_e32 v11, 16, v1
	ds_bpermute_b32 v14, v10, v13
	v_cmp_lt_u32_e32 vcc_lo, v11, v12
	s_waitcnt lgkmcnt(0)
	v_add_f32_e32 v14, v13, v14
	s_delay_alu instid0(VALU_DEP_1)
	v_cndmask_b32_e32 v12, v13, v14, vcc_lo
	v_cmpx_eq_u32_e32 0, v1
	s_cbranch_execz .LBB22_25
; %bb.24:
	v_lshrrev_b32_e32 v13, 3, v0
	s_delay_alu instid0(VALU_DEP_1)
	v_and_b32_e32 v13, 0x7c, v13
	ds_store_b32 v13, v12
.LBB22_25:
	s_or_b32 exec_lo, exec_lo, s2
	s_delay_alu instid0(SALU_CYCLE_1)
	s_mov_b32 s2, exec_lo
	s_waitcnt lgkmcnt(0)
	s_barrier
	buffer_gl0_inv
	v_cmpx_gt_u32_e32 32, v0
	s_cbranch_execz .LBB22_27
; %bb.26:
	v_lshlrev_b32_e32 v1, 2, v1
	s_add_i32 s10, s12, 31
	s_delay_alu instid0(SALU_CYCLE_1) | instskip(NEXT) | instid1(SALU_CYCLE_1)
	s_lshr_b32 s10, s10, 5
	v_cmp_gt_u32_e32 vcc_lo, s10, v3
	ds_load_b32 v1, v1
	s_waitcnt lgkmcnt(0)
	ds_bpermute_b32 v2, v2, v1
	s_waitcnt lgkmcnt(0)
	v_add_f32_e32 v2, v1, v2
	s_delay_alu instid0(VALU_DEP_1) | instskip(SKIP_4) | instid1(VALU_DEP_1)
	v_cndmask_b32_e32 v1, v1, v2, vcc_lo
	v_cmp_gt_u32_e32 vcc_lo, s10, v4
	ds_bpermute_b32 v2, v5, v1
	s_waitcnt lgkmcnt(0)
	v_add_f32_e32 v2, v1, v2
	v_cndmask_b32_e32 v1, v1, v2, vcc_lo
	v_cmp_gt_u32_e32 vcc_lo, s10, v7
	ds_bpermute_b32 v2, v6, v1
	s_waitcnt lgkmcnt(0)
	v_add_f32_e32 v2, v1, v2
	s_delay_alu instid0(VALU_DEP_1) | instskip(SKIP_4) | instid1(VALU_DEP_1)
	v_cndmask_b32_e32 v1, v1, v2, vcc_lo
	v_cmp_gt_u32_e32 vcc_lo, s10, v9
	ds_bpermute_b32 v2, v8, v1
	s_waitcnt lgkmcnt(0)
	v_add_f32_e32 v2, v1, v2
	v_cndmask_b32_e32 v1, v1, v2, vcc_lo
	v_cmp_gt_u32_e32 vcc_lo, s10, v11
	ds_bpermute_b32 v2, v10, v1
	s_waitcnt lgkmcnt(0)
	v_add_f32_e32 v2, v1, v2
	s_delay_alu instid0(VALU_DEP_1)
	v_cndmask_b32_e32 v12, v1, v2, vcc_lo
.LBB22_27:
	s_or_b32 exec_lo, exec_lo, s2
	s_delay_alu instid0(SALU_CYCLE_1)
	s_mov_b32 s2, exec_lo
	v_cmpx_eq_u32_e32 0, v0
	s_cbranch_execz .LBB22_29
; %bb.28:
	v_cvt_f32_i32_e32 v1, s3
	s_load_b32 s10, s[0:1], 0x40
	s_delay_alu instid0(VALU_DEP_1) | instskip(SKIP_1) | instid1(VALU_DEP_2)
	v_div_scale_f32 v2, null, v1, v1, v12
	v_div_scale_f32 v5, vcc_lo, v12, v1, v12
	v_rcp_f32_e32 v3, v2
	s_waitcnt_depctr 0xfff
	v_fma_f32 v4, -v2, v3, 1.0
	s_delay_alu instid0(VALU_DEP_1) | instskip(NEXT) | instid1(VALU_DEP_1)
	v_fmac_f32_e32 v3, v4, v3
	v_mul_f32_e32 v4, v5, v3
	s_delay_alu instid0(VALU_DEP_1) | instskip(NEXT) | instid1(VALU_DEP_1)
	v_fma_f32 v6, -v2, v4, v5
	v_fmac_f32_e32 v4, v6, v3
	s_delay_alu instid0(VALU_DEP_1) | instskip(NEXT) | instid1(VALU_DEP_1)
	v_fma_f32 v2, -v2, v4, v5
	v_div_fmas_f32 v2, v2, v3, v4
	s_delay_alu instid0(VALU_DEP_1) | instskip(SKIP_1) | instid1(VALU_DEP_1)
	v_div_fixup_f32 v1, v2, v1, v12
	s_waitcnt lgkmcnt(0)
	v_add_f32_e32 v1, s10, v1
	s_delay_alu instid0(VALU_DEP_1) | instskip(SKIP_1) | instid1(VALU_DEP_2)
	v_mul_f32_e32 v2, 0x4b800000, v1
	v_cmp_gt_f32_e32 vcc_lo, 0x800000, v1
	v_cndmask_b32_e32 v1, v1, v2, vcc_lo
	s_delay_alu instid0(VALU_DEP_1) | instskip(SKIP_2) | instid1(VALU_DEP_1)
	v_rsq_f32_e32 v1, v1
	s_waitcnt_depctr 0xfff
	v_mul_f32_e32 v2, 0x45800000, v1
	v_dual_cndmask_b32 v1, v1, v2 :: v_dual_mov_b32 v2, 0
	ds_store_b32 v2, v1 offset:128
.LBB22_29:
	s_or_b32 exec_lo, exec_lo, s2
	s_ashr_i32 s2, s3, 31
	s_waitcnt lgkmcnt(0)
	s_lshr_b32 s2, s2, 30
	s_barrier
	s_add_i32 s2, s3, s2
	buffer_gl0_inv
	s_ashr_i32 s10, s2, 2
	s_mov_b32 s2, exec_lo
	v_cmpx_gt_i32_e64 s10, v0
	s_cbranch_execz .LBB22_32
; %bb.30:
	s_clause 0x1
	s_load_b64 s[16:17], s[0:1], 0x0
	s_load_b64 s[18:19], s[0:1], 0x38
	v_dual_mov_b32 v1, 0 :: v_dual_lshlrev_b32 v2, 3, v0
	s_mul_i32 s0, s15, s3
	s_mov_b32 s1, 0
	s_delay_alu instid0(SALU_CYCLE_1) | instskip(SKIP_4) | instid1(VALU_DEP_1)
	s_lshl_b64 s[2:3], s[0:1], 1
	ds_load_b32 v1, v1 offset:128
	s_waitcnt lgkmcnt(0)
	s_add_u32 s2, s16, s2
	v_add_co_u32 v6, s0, v2, s18
	v_add_co_ci_u32_e64 v7, null, 0, s19, s0
	s_addc_u32 s3, s17, s3
	s_lshl_b32 s0, s12, 3
	s_add_u32 s6, s8, s6
	s_addc_u32 s7, s9, s7
	s_add_u32 s4, s4, s6
	s_addc_u32 s5, s5, s7
	v_add_co_u32 v4, s4, s4, v2
	s_delay_alu instid0(VALU_DEP_1) | instskip(SKIP_1) | instid1(VALU_DEP_3)
	v_add_co_ci_u32_e64 v5, null, s5, 0, s4
	v_add_co_u32 v2, s2, s2, v2
	v_add_co_u32 v4, vcc_lo, v4, 4
	s_delay_alu instid0(VALU_DEP_3)
	v_add_co_ci_u32_e32 v5, vcc_lo, 0, v5, vcc_lo
	v_add_co_u32 v6, vcc_lo, v6, 4
	v_add_co_ci_u32_e64 v3, null, s3, 0, s2
	v_add_co_ci_u32_e32 v7, vcc_lo, 0, v7, vcc_lo
	s_mov_b64 s[2:3], 0
	s_set_inst_prefetch_distance 0x1
	.p2align	6
.LBB22_31:                              ; =>This Inner Loop Header: Depth=1
	v_add_co_u32 v8, vcc_lo, v4, s2
	v_add_co_ci_u32_e32 v9, vcc_lo, s3, v5, vcc_lo
	v_add_co_u32 v10, vcc_lo, v6, s2
	v_add_co_ci_u32_e32 v11, vcc_lo, s3, v7, vcc_lo
	global_load_b64 v[8:9], v[8:9], off offset:-4
	v_add_nc_u32_e32 v0, s12, v0
	v_add_co_u32 v12, vcc_lo, v2, s2
	global_load_b64 v[10:11], v[10:11], off offset:-4
	v_add_co_ci_u32_e32 v13, vcc_lo, s3, v3, vcc_lo
	v_cmp_le_i32_e32 vcc_lo, s10, v0
	s_add_u32 s2, s2, s0
	s_addc_u32 s3, s3, 0
	s_or_b32 s1, vcc_lo, s1
	s_waitcnt vmcnt(1)
	v_fma_mixlo_f16 v14, v1, v8, 0 op_sel_hi:[0,1,0]
	v_fma_mixlo_f16 v15, v1, v9, 0 op_sel_hi:[0,1,0]
	s_delay_alu instid0(VALU_DEP_2) | instskip(NEXT) | instid1(VALU_DEP_2)
	v_fma_mixhi_f16 v14, v1, v8, 0 op_sel:[0,1,0] op_sel_hi:[0,1,0]
	v_fma_mixhi_f16 v15, v1, v9, 0 op_sel:[0,1,0] op_sel_hi:[0,1,0]
	s_waitcnt vmcnt(0)
	s_delay_alu instid0(VALU_DEP_2) | instskip(NEXT) | instid1(VALU_DEP_2)
	v_pk_mul_f16 v8, v10, v14
	v_pk_mul_f16 v9, v11, v15
	global_store_b64 v[12:13], v[8:9], off
	s_and_not1_b32 exec_lo, exec_lo, s1
	s_cbranch_execnz .LBB22_31
.LBB22_32:
	s_set_inst_prefetch_distance 0x2
	s_nop 0
	s_sendmsg sendmsg(MSG_DEALLOC_VGPRS)
	s_endpgm
.LBB22_33:
                                        ; implicit-def: $sgpr10_sgpr11
	s_branch .LBB22_2
	.section	.rodata,"a",@progbits
	.p2align	6, 0x0
	.amdhsa_kernel _ZN4vllm15rms_norm_kernelIN3c104HalfELi4ELi3EEEvPT_PKS3_lllllS6_fii
		.amdhsa_group_segment_fixed_size 132
		.amdhsa_private_segment_fixed_size 0
		.amdhsa_kernarg_size 336
		.amdhsa_user_sgpr_count 15
		.amdhsa_user_sgpr_dispatch_ptr 0
		.amdhsa_user_sgpr_queue_ptr 0
		.amdhsa_user_sgpr_kernarg_segment_ptr 1
		.amdhsa_user_sgpr_dispatch_id 0
		.amdhsa_user_sgpr_private_segment_size 0
		.amdhsa_wavefront_size32 1
		.amdhsa_uses_dynamic_stack 0
		.amdhsa_enable_private_segment 0
		.amdhsa_system_sgpr_workgroup_id_x 1
		.amdhsa_system_sgpr_workgroup_id_y 0
		.amdhsa_system_sgpr_workgroup_id_z 0
		.amdhsa_system_sgpr_workgroup_info 0
		.amdhsa_system_vgpr_workitem_id 0
		.amdhsa_next_free_vgpr 16
		.amdhsa_next_free_sgpr 21
		.amdhsa_reserve_vcc 1
		.amdhsa_float_round_mode_32 0
		.amdhsa_float_round_mode_16_64 0
		.amdhsa_float_denorm_mode_32 3
		.amdhsa_float_denorm_mode_16_64 3
		.amdhsa_dx10_clamp 1
		.amdhsa_ieee_mode 1
		.amdhsa_fp16_overflow 0
		.amdhsa_workgroup_processor_mode 1
		.amdhsa_memory_ordered 1
		.amdhsa_forward_progress 0
		.amdhsa_shared_vgpr_count 0
		.amdhsa_exception_fp_ieee_invalid_op 0
		.amdhsa_exception_fp_denorm_src 0
		.amdhsa_exception_fp_ieee_div_zero 0
		.amdhsa_exception_fp_ieee_overflow 0
		.amdhsa_exception_fp_ieee_underflow 0
		.amdhsa_exception_fp_ieee_inexact 0
		.amdhsa_exception_int_div_zero 0
	.end_amdhsa_kernel
	.section	.text._ZN4vllm15rms_norm_kernelIN3c104HalfELi4ELi3EEEvPT_PKS3_lllllS6_fii,"axG",@progbits,_ZN4vllm15rms_norm_kernelIN3c104HalfELi4ELi3EEEvPT_PKS3_lllllS6_fii,comdat
.Lfunc_end22:
	.size	_ZN4vllm15rms_norm_kernelIN3c104HalfELi4ELi3EEEvPT_PKS3_lllllS6_fii, .Lfunc_end22-_ZN4vllm15rms_norm_kernelIN3c104HalfELi4ELi3EEEvPT_PKS3_lllllS6_fii
                                        ; -- End function
	.section	.AMDGPU.csdata,"",@progbits
; Kernel info:
; codeLenInByte = 2804
; NumSgprs: 23
; NumVgprs: 16
; ScratchSize: 0
; MemoryBound: 0
; FloatMode: 240
; IeeeMode: 1
; LDSByteSize: 132 bytes/workgroup (compile time only)
; SGPRBlocks: 2
; VGPRBlocks: 1
; NumSGPRsForWavesPerEU: 23
; NumVGPRsForWavesPerEU: 16
; Occupancy: 16
; WaveLimiterHint : 0
; COMPUTE_PGM_RSRC2:SCRATCH_EN: 0
; COMPUTE_PGM_RSRC2:USER_SGPR: 15
; COMPUTE_PGM_RSRC2:TRAP_HANDLER: 0
; COMPUTE_PGM_RSRC2:TGID_X_EN: 1
; COMPUTE_PGM_RSRC2:TGID_Y_EN: 0
; COMPUTE_PGM_RSRC2:TGID_Z_EN: 0
; COMPUTE_PGM_RSRC2:TIDIG_COMP_CNT: 0
	.section	.text._ZN4vllm15rms_norm_kernelIN3c104HalfELi2ELi3EEEvPT_PKS3_lllllS6_fii,"axG",@progbits,_ZN4vllm15rms_norm_kernelIN3c104HalfELi2ELi3EEEvPT_PKS3_lllllS6_fii,comdat
	.protected	_ZN4vllm15rms_norm_kernelIN3c104HalfELi2ELi3EEEvPT_PKS3_lllllS6_fii ; -- Begin function _ZN4vllm15rms_norm_kernelIN3c104HalfELi2ELi3EEEvPT_PKS3_lllllS6_fii
	.globl	_ZN4vllm15rms_norm_kernelIN3c104HalfELi2ELi3EEEvPT_PKS3_lllllS6_fii
	.p2align	8
	.type	_ZN4vllm15rms_norm_kernelIN3c104HalfELi2ELi3EEEvPT_PKS3_lllllS6_fii,@function
_ZN4vllm15rms_norm_kernelIN3c104HalfELi2ELi3EEEvPT_PKS3_lllllS6_fii: ; @_ZN4vllm15rms_norm_kernelIN3c104HalfELi2ELi3EEEvPT_PKS3_lllllS6_fii
; %bb.0:
	s_clause 0x1
	s_load_b64 s[2:3], s[0:1], 0x28
	s_load_b64 s[6:7], s[0:1], 0x8
	s_mov_b32 s4, 0
	s_waitcnt lgkmcnt(0)
	s_mov_b32 s5, s3
	s_delay_alu instid0(SALU_CYCLE_1)
	s_cmp_lg_u64 s[4:5], 0
	s_cbranch_scc0 .LBB23_32
; %bb.1:
	s_ashr_i32 s8, s3, 31
	s_delay_alu instid0(SALU_CYCLE_1) | instskip(SKIP_2) | instid1(SALU_CYCLE_1)
	s_add_u32 s10, s2, s8
	s_mov_b32 s9, s8
	s_addc_u32 s11, s3, s8
	s_xor_b64 s[10:11], s[10:11], s[8:9]
	s_delay_alu instid0(SALU_CYCLE_1) | instskip(SKIP_3) | instid1(VALU_DEP_1)
	v_cvt_f32_u32_e32 v1, s10
	v_cvt_f32_u32_e32 v2, s11
	s_sub_u32 s12, 0, s10
	s_subb_u32 s13, 0, s11
	v_fmamk_f32 v1, v2, 0x4f800000, v1
	s_delay_alu instid0(VALU_DEP_1) | instskip(SKIP_2) | instid1(VALU_DEP_1)
	v_rcp_f32_e32 v1, v1
	s_waitcnt_depctr 0xfff
	v_mul_f32_e32 v1, 0x5f7ffffc, v1
	v_mul_f32_e32 v2, 0x2f800000, v1
	s_delay_alu instid0(VALU_DEP_1) | instskip(NEXT) | instid1(VALU_DEP_1)
	v_trunc_f32_e32 v2, v2
	v_fmamk_f32 v1, v2, 0xcf800000, v1
	v_cvt_u32_f32_e32 v2, v2
	s_delay_alu instid0(VALU_DEP_2) | instskip(NEXT) | instid1(VALU_DEP_2)
	v_cvt_u32_f32_e32 v1, v1
	v_readfirstlane_b32 s3, v2
	s_delay_alu instid0(VALU_DEP_2) | instskip(NEXT) | instid1(VALU_DEP_2)
	v_readfirstlane_b32 s5, v1
	s_mul_i32 s14, s12, s3
	s_delay_alu instid0(VALU_DEP_1)
	s_mul_hi_u32 s17, s12, s5
	s_mul_i32 s16, s13, s5
	s_add_i32 s14, s17, s14
	s_mul_i32 s18, s12, s5
	s_add_i32 s14, s14, s16
	s_mul_hi_u32 s17, s5, s18
	s_mul_hi_u32 s19, s3, s18
	s_mul_i32 s16, s3, s18
	s_mul_hi_u32 s18, s5, s14
	s_mul_i32 s5, s5, s14
	s_mul_hi_u32 s20, s3, s14
	s_add_u32 s5, s17, s5
	s_addc_u32 s17, 0, s18
	s_add_u32 s5, s5, s16
	s_mul_i32 s14, s3, s14
	s_addc_u32 s5, s17, s19
	s_addc_u32 s16, s20, 0
	s_add_u32 s5, s5, s14
	s_addc_u32 s14, 0, s16
	v_add_co_u32 v1, s5, v1, s5
	s_delay_alu instid0(VALU_DEP_1) | instskip(SKIP_1) | instid1(VALU_DEP_1)
	s_cmp_lg_u32 s5, 0
	s_addc_u32 s3, s3, s14
	v_readfirstlane_b32 s5, v1
	s_mul_i32 s14, s12, s3
	s_delay_alu instid0(VALU_DEP_1)
	s_mul_hi_u32 s16, s12, s5
	s_mul_i32 s13, s13, s5
	s_add_i32 s14, s16, s14
	s_mul_i32 s12, s12, s5
	s_add_i32 s14, s14, s13
	s_mul_hi_u32 s16, s3, s12
	s_mul_i32 s17, s3, s12
	s_mul_hi_u32 s12, s5, s12
	s_mul_hi_u32 s18, s5, s14
	s_mul_i32 s5, s5, s14
	s_mul_hi_u32 s13, s3, s14
	s_add_u32 s5, s12, s5
	s_addc_u32 s12, 0, s18
	s_add_u32 s5, s5, s17
	s_mul_i32 s14, s3, s14
	s_addc_u32 s5, s12, s16
	s_addc_u32 s12, s13, 0
	s_add_u32 s5, s5, s14
	s_addc_u32 s12, 0, s12
	v_add_co_u32 v1, s5, v1, s5
	s_delay_alu instid0(VALU_DEP_1) | instskip(SKIP_1) | instid1(VALU_DEP_1)
	s_cmp_lg_u32 s5, 0
	s_addc_u32 s3, s3, s12
	v_readfirstlane_b32 s5, v1
	s_mul_i32 s12, s15, s3
	s_mul_hi_u32 s3, s15, s3
	s_delay_alu instid0(VALU_DEP_1) | instskip(NEXT) | instid1(SALU_CYCLE_1)
	s_mul_hi_u32 s5, s15, s5
	s_add_u32 s5, s5, s12
	s_addc_u32 s3, 0, s3
	s_add_u32 s5, s5, 0
	s_addc_u32 s3, s3, 0
	s_addc_u32 s5, 0, 0
	s_add_u32 s3, s3, 0
	s_addc_u32 s5, 0, s5
	s_mul_hi_u32 s12, s10, s3
	s_mul_i32 s14, s10, s5
	s_mul_i32 s16, s10, s3
	s_add_i32 s12, s12, s14
	v_sub_co_u32 v1, s14, s15, s16
	s_mul_i32 s13, s11, s3
	s_delay_alu instid0(SALU_CYCLE_1) | instskip(NEXT) | instid1(VALU_DEP_1)
	s_add_i32 s12, s12, s13
	v_sub_co_u32 v2, s16, v1, s10
	s_sub_i32 s13, 0, s12
	s_cmp_lg_u32 s14, 0
	s_subb_u32 s13, s13, s11
	s_cmp_lg_u32 s16, 0
	v_readfirstlane_b32 s16, v2
	s_subb_u32 s13, s13, 0
	s_delay_alu instid0(SALU_CYCLE_1) | instskip(SKIP_1) | instid1(VALU_DEP_1)
	s_cmp_ge_u32 s13, s11
	s_cselect_b32 s17, -1, 0
	s_cmp_ge_u32 s16, s10
	s_cselect_b32 s16, -1, 0
	s_cmp_eq_u32 s13, s11
	s_cselect_b32 s13, s16, s17
	s_add_u32 s16, s3, 1
	s_addc_u32 s17, s5, 0
	s_add_u32 s18, s3, 2
	s_addc_u32 s19, s5, 0
	s_cmp_lg_u32 s13, 0
	s_cselect_b32 s13, s18, s16
	s_cselect_b32 s16, s19, s17
	s_cmp_lg_u32 s14, 0
	v_readfirstlane_b32 s14, v1
	s_subb_u32 s12, 0, s12
	s_delay_alu instid0(SALU_CYCLE_1) | instskip(SKIP_1) | instid1(VALU_DEP_1)
	s_cmp_ge_u32 s12, s11
	s_cselect_b32 s17, -1, 0
	s_cmp_ge_u32 s14, s10
	s_cselect_b32 s10, -1, 0
	s_cmp_eq_u32 s12, s11
	s_cselect_b32 s10, s10, s17
	s_delay_alu instid0(SALU_CYCLE_1) | instskip(SKIP_2) | instid1(SALU_CYCLE_1)
	s_cmp_lg_u32 s10, 0
	s_cselect_b32 s11, s16, s5
	s_cselect_b32 s10, s13, s3
	s_xor_b64 s[10:11], s[10:11], s[8:9]
	s_delay_alu instid0(SALU_CYCLE_1)
	s_sub_u32 s10, s10, s8
	s_subb_u32 s11, s11, s8
	s_and_not1_b32 vcc_lo, exec_lo, s4
	s_cbranch_vccnz .LBB23_3
.LBB23_2:
	v_cvt_f32_u32_e32 v1, s2
	s_sub_i32 s4, 0, s2
	s_mov_b32 s11, 0
	s_delay_alu instid0(VALU_DEP_1) | instskip(SKIP_2) | instid1(VALU_DEP_1)
	v_rcp_iflag_f32_e32 v1, v1
	s_waitcnt_depctr 0xfff
	v_mul_f32_e32 v1, 0x4f7ffffe, v1
	v_cvt_u32_f32_e32 v1, v1
	s_delay_alu instid0(VALU_DEP_1) | instskip(NEXT) | instid1(VALU_DEP_1)
	v_readfirstlane_b32 s3, v1
	s_mul_i32 s4, s4, s3
	s_delay_alu instid0(SALU_CYCLE_1) | instskip(NEXT) | instid1(SALU_CYCLE_1)
	s_mul_hi_u32 s4, s3, s4
	s_add_i32 s3, s3, s4
	s_delay_alu instid0(SALU_CYCLE_1) | instskip(NEXT) | instid1(SALU_CYCLE_1)
	s_mul_hi_u32 s3, s15, s3
	s_mul_i32 s4, s3, s2
	s_add_i32 s5, s3, 1
	s_sub_i32 s4, s15, s4
	s_delay_alu instid0(SALU_CYCLE_1)
	s_sub_i32 s8, s4, s2
	s_cmp_ge_u32 s4, s2
	s_cselect_b32 s3, s5, s3
	s_cselect_b32 s4, s8, s4
	s_add_i32 s5, s3, 1
	s_cmp_ge_u32 s4, s2
	s_cselect_b32 s10, s5, s3
.LBB23_3:
	s_load_b128 s[20:23], s[0:1], 0x10
	s_mul_i32 s4, s10, s2
	s_bfe_i64 s[2:3], s[10:11], 0x200000
	s_clause 0x1
	s_load_b32 s16, s[0:1], 0x48
	s_load_b32 s12, s[0:1], 0x5c
	s_sub_i32 s4, s15, s4
	s_waitcnt lgkmcnt(0)
	s_mul_i32 s2, s10, s23
	s_mul_hi_u32 s5, s10, s22
	s_mul_i32 s3, s3, s22
	s_add_i32 s5, s5, s2
	s_mul_i32 s2, s10, s22
	s_add_i32 s3, s5, s3
	s_mul_i32 s5, s4, s21
	s_lshl_b64 s[8:9], s[2:3], 1
	s_mul_hi_u32 s2, s4, s20
	s_add_u32 s13, s6, s8
	s_addc_u32 s14, s7, s9
	s_ashr_i32 s3, s4, 31
	s_add_i32 s5, s2, s5
	s_mul_i32 s3, s3, s20
	s_mul_i32 s2, s4, s20
	s_add_i32 s3, s5, s3
	s_delay_alu instid0(SALU_CYCLE_1)
	s_lshl_b64 s[10:11], s[2:3], 1
	s_mov_b32 s3, 0
	s_add_u32 s4, s13, s10
	s_addc_u32 s5, s14, s11
	s_and_b32 s2, s4, 3
	s_and_b32 s14, s12, 0xffff
	s_cmp_lg_u64 s[2:3], 0
	s_cselect_b32 s2, -1, 0
	s_bitcmp1_b32 s16, 0
	s_cselect_b32 s3, -1, 0
	s_delay_alu instid0(SALU_CYCLE_1) | instskip(NEXT) | instid1(SALU_CYCLE_1)
	s_or_b32 s2, s3, s2
	s_and_b32 vcc_lo, exec_lo, s2
	s_cbranch_vccz .LBB23_16
; %bb.4:
	s_sub_i32 s2, 0, s4
	v_mov_b32_e32 v4, 0
	s_bfe_u32 s2, s2, 0x10001
	s_mov_b32 s13, exec_lo
	s_min_i32 s12, s2, s16
	s_delay_alu instid0(SALU_CYCLE_1)
	v_cmpx_gt_i32_e64 s12, v0
	s_cbranch_execz .LBB23_7
; %bb.5:
	v_dual_mov_b32 v1, 0 :: v_dual_mov_b32 v4, 0
	s_lshl_b32 s17, s14, 1
	s_mov_b32 s18, 0
	s_mov_b64 s[2:3], s[4:5]
.LBB23_6:                               ; =>This Inner Loop Header: Depth=1
	global_load_u16 v2, v1, s[2:3]
	s_add_i32 s18, s18, s14
	s_add_u32 s2, s2, s17
	s_addc_u32 s3, s3, 0
	s_cmp_ge_i32 s18, s12
	s_waitcnt vmcnt(0)
	v_fma_mix_f32 v4, v2, v2, v4 op_sel_hi:[1,1,0]
	s_cbranch_scc0 .LBB23_6
.LBB23_7:
	s_or_b32 exec_lo, exec_lo, s13
	s_sub_i32 s3, s16, s12
	s_ashr_i32 s13, s12, 31
	s_lshr_b32 s2, s3, 31
	s_mov_b32 s18, exec_lo
	s_add_i32 s2, s3, s2
	s_delay_alu instid0(SALU_CYCLE_1) | instskip(NEXT) | instid1(SALU_CYCLE_1)
	s_ashr_i32 s17, s2, 1
	v_cmpx_gt_i32_e64 s17, v0
	s_cbranch_execz .LBB23_11
; %bb.8:
	s_add_u32 s2, s10, s8
	s_addc_u32 s19, s11, s9
	s_lshl_b64 s[20:21], s[12:13], 1
	v_lshlrev_b32_e32 v1, 2, v0
	s_add_u32 s20, s6, s20
	s_addc_u32 s21, s7, s21
	s_add_u32 s2, s20, s2
	s_addc_u32 s19, s21, s19
	v_add_co_u32 v1, s2, s2, v1
	s_delay_alu instid0(VALU_DEP_1) | instskip(SKIP_1) | instid1(VALU_DEP_3)
	v_add_co_ci_u32_e64 v2, null, s19, 0, s2
	v_mov_b32_e32 v3, v0
	v_add_co_u32 v1, vcc_lo, v1, 2
	s_delay_alu instid0(VALU_DEP_3)
	v_add_co_ci_u32_e32 v2, vcc_lo, 0, v2, vcc_lo
	s_mov_b32 s19, 0
	s_lshl_b32 s20, s14, 2
.LBB23_9:                               ; =>This Inner Loop Header: Depth=1
	global_load_b32 v5, v[1:2], off offset:-2
	v_add_nc_u32_e32 v3, s14, v3
	v_add_co_u32 v1, vcc_lo, v1, s20
	v_add_co_ci_u32_e32 v2, vcc_lo, 0, v2, vcc_lo
	s_delay_alu instid0(VALU_DEP_3) | instskip(NEXT) | instid1(VALU_DEP_1)
	v_cmp_le_i32_e64 s2, s17, v3
	s_or_b32 s19, s2, s19
	s_waitcnt vmcnt(0)
	v_fma_mix_f32 v4, v5, v5, v4 op_sel_hi:[1,1,0]
	s_delay_alu instid0(VALU_DEP_1)
	v_fma_mix_f32 v4, v5, v5, v4 op_sel:[1,1,0] op_sel_hi:[1,1,0]
	s_and_not1_b32 exec_lo, exec_lo, s19
	s_cbranch_execnz .LBB23_9
; %bb.10:
	s_or_b32 exec_lo, exec_lo, s19
.LBB23_11:
	s_delay_alu instid0(SALU_CYCLE_1) | instskip(SKIP_2) | instid1(VALU_DEP_1)
	s_or_b32 exec_lo, exec_lo, s18
	v_lshl_add_u32 v1, s17, 1, v0
	s_mov_b32 s17, exec_lo
	v_cmpx_gt_i32_e64 s3, v1
	s_cbranch_execz .LBB23_15
; %bb.12:
	v_ashrrev_i32_e32 v2, 31, v1
	s_add_u32 s2, s10, s8
	s_addc_u32 s18, s11, s9
	s_lshl_b64 s[12:13], s[12:13], 1
	s_delay_alu instid0(SALU_CYCLE_1)
	s_add_u32 s2, s2, s12
	v_lshlrev_b64 v[2:3], 1, v[1:2]
	s_addc_u32 s12, s18, s13
	s_add_u32 s2, s6, s2
	s_addc_u32 s12, s7, s12
	s_lshl_b32 s13, s14, 1
	s_delay_alu instid0(VALU_DEP_1)
	v_add_co_u32 v2, vcc_lo, s2, v2
	v_add_co_ci_u32_e32 v3, vcc_lo, s12, v3, vcc_lo
	s_mov_b32 s12, 0
.LBB23_13:                              ; =>This Inner Loop Header: Depth=1
	global_load_u16 v5, v[2:3], off
	v_add_nc_u32_e32 v1, s14, v1
	v_add_co_u32 v2, vcc_lo, v2, s13
	v_add_co_ci_u32_e32 v3, vcc_lo, 0, v3, vcc_lo
	s_delay_alu instid0(VALU_DEP_3) | instskip(NEXT) | instid1(VALU_DEP_1)
	v_cmp_le_i32_e64 s2, s3, v1
	s_or_b32 s12, s2, s12
	s_waitcnt vmcnt(0)
	v_fma_mix_f32 v4, v5, v5, v4 op_sel_hi:[1,1,0]
	s_and_not1_b32 exec_lo, exec_lo, s12
	s_cbranch_execnz .LBB23_13
; %bb.14:
	s_or_b32 exec_lo, exec_lo, s12
.LBB23_15:
	s_delay_alu instid0(SALU_CYCLE_1)
	s_or_b32 exec_lo, exec_lo, s17
	s_branch .LBB23_22
.LBB23_16:
                                        ; implicit-def: $vgpr4
	s_cbranch_execz .LBB23_22
; %bb.17:
	v_mov_b32_e32 v4, 0
	s_ashr_i32 s12, s16, 1
	s_mov_b32 s3, exec_lo
	v_cmpx_gt_i32_e64 s12, v0
	s_cbranch_execz .LBB23_21
; %bb.18:
	v_dual_mov_b32 v4, 0 :: v_dual_lshlrev_b32 v1, 2, v0
	s_add_u32 s2, s10, s8
	s_addc_u32 s8, s11, s9
	s_add_u32 s2, s6, s2
	s_addc_u32 s6, s7, s8
	v_add_co_u32 v1, s2, s2, v1
	s_delay_alu instid0(VALU_DEP_1) | instskip(SKIP_1) | instid1(VALU_DEP_3)
	v_add_co_ci_u32_e64 v2, null, s6, 0, s2
	v_mov_b32_e32 v3, v0
	v_add_co_u32 v1, vcc_lo, v1, 2
	s_delay_alu instid0(VALU_DEP_3)
	v_add_co_ci_u32_e32 v2, vcc_lo, 0, v2, vcc_lo
	s_mov_b32 s6, 0
	s_lshl_b32 s7, s14, 2
.LBB23_19:                              ; =>This Inner Loop Header: Depth=1
	global_load_b32 v5, v[1:2], off offset:-2
	v_add_nc_u32_e32 v3, s14, v3
	v_add_co_u32 v1, vcc_lo, v1, s7
	v_add_co_ci_u32_e32 v2, vcc_lo, 0, v2, vcc_lo
	s_delay_alu instid0(VALU_DEP_3) | instskip(NEXT) | instid1(VALU_DEP_1)
	v_cmp_le_i32_e64 s2, s12, v3
	s_or_b32 s6, s2, s6
	s_waitcnt vmcnt(0)
	v_fma_mix_f32 v4, v5, v5, v4 op_sel_hi:[1,1,0]
	s_delay_alu instid0(VALU_DEP_1)
	v_fma_mix_f32 v4, v5, v5, v4 op_sel:[1,1,0] op_sel_hi:[1,1,0]
	s_and_not1_b32 exec_lo, exec_lo, s6
	s_cbranch_execnz .LBB23_19
; %bb.20:
	s_or_b32 exec_lo, exec_lo, s6
.LBB23_21:
	s_delay_alu instid0(SALU_CYCLE_1)
	s_or_b32 exec_lo, exec_lo, s3
.LBB23_22:
	v_mbcnt_lo_u32_b32 v1, -1, 0
	v_and_b32_e32 v3, 0x3e0, v0
	s_mov_b32 s2, exec_lo
	s_delay_alu instid0(VALU_DEP_2) | instskip(NEXT) | instid1(VALU_DEP_2)
	v_cmp_ne_u32_e32 vcc_lo, 31, v1
	v_sub_nc_u32_e64 v12, s14, v3 clamp
	v_add_nc_u32_e32 v3, 1, v1
	v_add_co_ci_u32_e32 v2, vcc_lo, 0, v1, vcc_lo
	v_cmp_gt_u32_e32 vcc_lo, 30, v1
	s_delay_alu instid0(VALU_DEP_2)
	v_lshlrev_b32_e32 v2, 2, v2
	v_cndmask_b32_e64 v6, 0, 1, vcc_lo
	v_cmp_lt_u32_e32 vcc_lo, v3, v12
	ds_bpermute_b32 v5, v2, v4
	s_waitcnt lgkmcnt(0)
	v_dual_add_f32 v7, v4, v5 :: v_dual_lshlrev_b32 v6, 1, v6
	s_delay_alu instid0(VALU_DEP_1) | instskip(NEXT) | instid1(VALU_DEP_2)
	v_cndmask_b32_e32 v7, v4, v7, vcc_lo
	v_add_lshl_u32 v5, v6, v1, 2
	v_cmp_gt_u32_e32 vcc_lo, 28, v1
	ds_bpermute_b32 v6, v5, v7
	v_cndmask_b32_e64 v4, 0, 1, vcc_lo
	s_delay_alu instid0(VALU_DEP_1) | instskip(SKIP_1) | instid1(VALU_DEP_1)
	v_lshlrev_b32_e32 v8, 2, v4
	v_add_nc_u32_e32 v4, 2, v1
	v_cmp_lt_u32_e32 vcc_lo, v4, v12
	s_waitcnt lgkmcnt(0)
	v_add_f32_e32 v9, v7, v6
	v_add_lshl_u32 v6, v8, v1, 2
	s_delay_alu instid0(VALU_DEP_2) | instskip(SKIP_2) | instid1(VALU_DEP_1)
	v_cndmask_b32_e32 v9, v7, v9, vcc_lo
	v_cmp_gt_u32_e32 vcc_lo, 24, v1
	v_cndmask_b32_e64 v7, 0, 1, vcc_lo
	v_lshlrev_b32_e32 v10, 3, v7
	ds_bpermute_b32 v8, v6, v9
	v_add_nc_u32_e32 v7, 4, v1
	s_delay_alu instid0(VALU_DEP_1) | instskip(SKIP_3) | instid1(VALU_DEP_2)
	v_cmp_lt_u32_e32 vcc_lo, v7, v12
	s_waitcnt lgkmcnt(0)
	v_add_f32_e32 v11, v9, v8
	v_add_lshl_u32 v8, v10, v1, 2
	v_cndmask_b32_e32 v11, v9, v11, vcc_lo
	v_cmp_gt_u32_e32 vcc_lo, 16, v1
	ds_bpermute_b32 v10, v8, v11
	v_cndmask_b32_e64 v9, 0, 1, vcc_lo
	s_delay_alu instid0(VALU_DEP_1) | instskip(SKIP_1) | instid1(VALU_DEP_1)
	v_lshlrev_b32_e32 v13, 4, v9
	v_add_nc_u32_e32 v9, 8, v1
	v_cmp_lt_u32_e32 vcc_lo, v9, v12
	s_waitcnt lgkmcnt(0)
	v_add_f32_e32 v14, v11, v10
	v_add_lshl_u32 v10, v13, v1, 2
	s_delay_alu instid0(VALU_DEP_2)
	v_cndmask_b32_e32 v13, v11, v14, vcc_lo
	v_add_nc_u32_e32 v11, 16, v1
	ds_bpermute_b32 v14, v10, v13
	v_cmp_lt_u32_e32 vcc_lo, v11, v12
	s_waitcnt lgkmcnt(0)
	v_add_f32_e32 v14, v13, v14
	s_delay_alu instid0(VALU_DEP_1)
	v_cndmask_b32_e32 v12, v13, v14, vcc_lo
	v_cmpx_eq_u32_e32 0, v1
	s_cbranch_execz .LBB23_24
; %bb.23:
	v_lshrrev_b32_e32 v13, 3, v0
	s_delay_alu instid0(VALU_DEP_1)
	v_and_b32_e32 v13, 0x7c, v13
	ds_store_b32 v13, v12
.LBB23_24:
	s_or_b32 exec_lo, exec_lo, s2
	s_delay_alu instid0(SALU_CYCLE_1)
	s_mov_b32 s2, exec_lo
	s_waitcnt lgkmcnt(0)
	s_barrier
	buffer_gl0_inv
	v_cmpx_gt_u32_e32 32, v0
	s_cbranch_execz .LBB23_26
; %bb.25:
	v_lshlrev_b32_e32 v1, 2, v1
	s_add_i32 s3, s14, 31
	s_delay_alu instid0(SALU_CYCLE_1) | instskip(NEXT) | instid1(SALU_CYCLE_1)
	s_lshr_b32 s3, s3, 5
	v_cmp_gt_u32_e32 vcc_lo, s3, v3
	ds_load_b32 v1, v1
	s_waitcnt lgkmcnt(0)
	ds_bpermute_b32 v2, v2, v1
	s_waitcnt lgkmcnt(0)
	v_add_f32_e32 v2, v1, v2
	s_delay_alu instid0(VALU_DEP_1) | instskip(SKIP_4) | instid1(VALU_DEP_1)
	v_cndmask_b32_e32 v1, v1, v2, vcc_lo
	v_cmp_gt_u32_e32 vcc_lo, s3, v4
	ds_bpermute_b32 v2, v5, v1
	s_waitcnt lgkmcnt(0)
	v_add_f32_e32 v2, v1, v2
	v_cndmask_b32_e32 v1, v1, v2, vcc_lo
	v_cmp_gt_u32_e32 vcc_lo, s3, v7
	ds_bpermute_b32 v2, v6, v1
	s_waitcnt lgkmcnt(0)
	v_add_f32_e32 v2, v1, v2
	s_delay_alu instid0(VALU_DEP_1) | instskip(SKIP_4) | instid1(VALU_DEP_1)
	v_cndmask_b32_e32 v1, v1, v2, vcc_lo
	v_cmp_gt_u32_e32 vcc_lo, s3, v9
	ds_bpermute_b32 v2, v8, v1
	s_waitcnt lgkmcnt(0)
	v_add_f32_e32 v2, v1, v2
	v_cndmask_b32_e32 v1, v1, v2, vcc_lo
	v_cmp_gt_u32_e32 vcc_lo, s3, v11
	ds_bpermute_b32 v2, v10, v1
	s_waitcnt lgkmcnt(0)
	v_add_f32_e32 v2, v1, v2
	s_delay_alu instid0(VALU_DEP_1)
	v_cndmask_b32_e32 v12, v1, v2, vcc_lo
.LBB23_26:
	s_or_b32 exec_lo, exec_lo, s2
	s_delay_alu instid0(SALU_CYCLE_1)
	s_mov_b32 s2, exec_lo
	v_cmpx_eq_u32_e32 0, v0
	s_cbranch_execz .LBB23_28
; %bb.27:
	v_cvt_f32_i32_e32 v1, s16
	s_load_b32 s3, s[0:1], 0x40
	s_delay_alu instid0(VALU_DEP_1) | instskip(SKIP_1) | instid1(VALU_DEP_2)
	v_div_scale_f32 v2, null, v1, v1, v12
	v_div_scale_f32 v5, vcc_lo, v12, v1, v12
	v_rcp_f32_e32 v3, v2
	s_waitcnt_depctr 0xfff
	v_fma_f32 v4, -v2, v3, 1.0
	s_delay_alu instid0(VALU_DEP_1) | instskip(NEXT) | instid1(VALU_DEP_1)
	v_fmac_f32_e32 v3, v4, v3
	v_mul_f32_e32 v4, v5, v3
	s_delay_alu instid0(VALU_DEP_1) | instskip(NEXT) | instid1(VALU_DEP_1)
	v_fma_f32 v6, -v2, v4, v5
	v_fmac_f32_e32 v4, v6, v3
	s_delay_alu instid0(VALU_DEP_1) | instskip(NEXT) | instid1(VALU_DEP_1)
	v_fma_f32 v2, -v2, v4, v5
	v_div_fmas_f32 v2, v2, v3, v4
	s_delay_alu instid0(VALU_DEP_1) | instskip(SKIP_1) | instid1(VALU_DEP_1)
	v_div_fixup_f32 v1, v2, v1, v12
	s_waitcnt lgkmcnt(0)
	v_add_f32_e32 v1, s3, v1
	s_delay_alu instid0(VALU_DEP_1) | instskip(SKIP_1) | instid1(VALU_DEP_2)
	v_mul_f32_e32 v2, 0x4b800000, v1
	v_cmp_gt_f32_e32 vcc_lo, 0x800000, v1
	v_cndmask_b32_e32 v1, v1, v2, vcc_lo
	s_delay_alu instid0(VALU_DEP_1) | instskip(SKIP_2) | instid1(VALU_DEP_1)
	v_rsq_f32_e32 v1, v1
	s_waitcnt_depctr 0xfff
	v_mul_f32_e32 v2, 0x45800000, v1
	v_dual_cndmask_b32 v1, v1, v2 :: v_dual_mov_b32 v2, 0
	ds_store_b32 v2, v1 offset:128
.LBB23_28:
	s_or_b32 exec_lo, exec_lo, s2
	s_lshr_b32 s2, s16, 31
	s_waitcnt lgkmcnt(0)
	s_add_i32 s2, s16, s2
	s_barrier
	s_ashr_i32 s8, s2, 1
	buffer_gl0_inv
	s_mov_b32 s2, exec_lo
	v_cmpx_gt_i32_e64 s8, v0
	s_cbranch_execz .LBB23_39
; %bb.29:
	v_cvt_f32_u32_e32 v1, s14
	s_clause 0x1
	s_load_b64 s[10:11], s[0:1], 0x0
	s_load_b64 s[2:3], s[0:1], 0x38
	s_mul_i32 s6, s15, s16
	s_mov_b32 s7, 0
	v_rcp_iflag_f32_e32 v1, v1
	s_lshl_b64 s[12:13], s[6:7], 1
	v_add_nc_u32_e32 v3, s14, v0
	s_delay_alu instid0(VALU_DEP_1) | instskip(SKIP_3) | instid1(VALU_DEP_1)
	v_cmp_gt_i32_e32 vcc_lo, s8, v3
	v_max_i32_e32 v4, s8, v3
	s_waitcnt_depctr 0xfff
	v_mul_f32_e32 v1, 0x4f7ffffe, v1
	v_cvt_u32_f32_e32 v1, v1
	s_waitcnt lgkmcnt(0)
	s_add_u32 s1, s10, s12
	s_addc_u32 s6, s11, s13
	s_sub_i32 s0, 0, s14
	s_cmp_lg_u32 s14, 1
	v_mul_lo_u32 v2, s0, v1
	v_add_co_ci_u32_e64 v3, s0, s14, v0, vcc_lo
	s_delay_alu instid0(VALU_DEP_1) | instskip(NEXT) | instid1(VALU_DEP_3)
	v_sub_nc_u32_e32 v3, v4, v3
	v_mul_hi_u32 v2, v1, v2
	s_delay_alu instid0(VALU_DEP_1) | instskip(NEXT) | instid1(VALU_DEP_1)
	v_add_nc_u32_e32 v1, v1, v2
	v_mul_hi_u32 v1, v3, v1
	s_delay_alu instid0(VALU_DEP_1) | instskip(NEXT) | instid1(VALU_DEP_1)
	v_mul_lo_u32 v2, v1, s14
	v_sub_nc_u32_e32 v2, v3, v2
	v_add_nc_u32_e32 v3, 1, v1
	s_delay_alu instid0(VALU_DEP_2) | instskip(SKIP_1) | instid1(VALU_DEP_1)
	v_subrev_nc_u32_e32 v4, s14, v2
	v_cmp_le_u32_e64 s0, s14, v2
	v_cndmask_b32_e64 v1, v1, v3, s0
	s_delay_alu instid0(VALU_DEP_3) | instskip(NEXT) | instid1(VALU_DEP_2)
	v_cndmask_b32_e64 v2, v2, v4, s0
	v_dual_mov_b32 v3, 0 :: v_dual_add_nc_u32 v4, 1, v1
	s_delay_alu instid0(VALU_DEP_2) | instskip(SKIP_3) | instid1(VALU_DEP_1)
	v_cmp_le_u32_e64 s0, s14, v2
	ds_load_b32 v5, v3 offset:128
	v_cndmask_b32_e64 v1, v1, v4, s0
	s_cselect_b32 s0, -1, 0
	v_add_co_ci_u32_e32 v6, vcc_lo, 1, v1, vcc_lo
	s_delay_alu instid0(VALU_DEP_1) | instskip(SKIP_1) | instid1(SALU_CYCLE_1)
	v_cmp_gt_u32_e32 vcc_lo, 2, v6
	s_or_b32 s0, vcc_lo, s0
	s_and_saveexec_b32 s9, s0
	s_delay_alu instid0(SALU_CYCLE_1)
	s_xor_b32 s0, exec_lo, s9
	s_cbranch_execnz .LBB23_33
; %bb.30:
	s_and_not1_saveexec_b32 s9, s0
	s_cbranch_execnz .LBB23_34
.LBB23_31:
	s_or_b32 exec_lo, exec_lo, s9
	s_delay_alu instid0(SALU_CYCLE_1)
	s_and_b32 exec_lo, exec_lo, s7
	s_cbranch_execnz .LBB23_37
	s_branch .LBB23_39
.LBB23_32:
                                        ; implicit-def: $sgpr10_sgpr11
	s_branch .LBB23_2
.LBB23_33:
	s_mov_b32 s7, exec_lo
                                        ; implicit-def: $vgpr6
	s_and_not1_saveexec_b32 s9, s0
	s_cbranch_execz .LBB23_31
.LBB23_34:
	v_dual_mov_b32 v2, 0 :: v_dual_and_b32 v7, -2, v6
	v_add_nc_u32_e32 v1, 1, v0
	s_mov_b32 s10, 0
	s_delay_alu instid0(VALU_DEP_2) | instskip(NEXT) | instid1(VALU_DEP_2)
	v_mov_b32_e32 v8, v7
	v_dual_mov_b32 v4, v1 :: v_dual_mov_b32 v3, v0
.LBB23_35:                              ; =>This Inner Loop Header: Depth=1
	s_delay_alu instid0(VALU_DEP_1) | instskip(SKIP_1) | instid1(VALU_DEP_2)
	v_dual_mov_b32 v1, v3 :: v_dual_add_nc_u32 v8, -2, v8
	v_add_nc_u32_e32 v3, 2, v3
	v_lshlrev_b64 v[9:10], 2, v[1:2]
	s_delay_alu instid0(VALU_DEP_4) | instskip(NEXT) | instid1(VALU_DEP_1)
	v_dual_mov_b32 v1, v4 :: v_dual_add_nc_u32 v4, 2, v4
	v_lshlrev_b64 v[11:12], 2, v[1:2]
	s_delay_alu instid0(VALU_DEP_3) | instskip(NEXT) | instid1(VALU_DEP_4)
	v_add_co_u32 v13, vcc_lo, s4, v9
	v_add_co_ci_u32_e32 v14, vcc_lo, s5, v10, vcc_lo
	v_add_co_u32 v15, vcc_lo, s2, v9
	v_add_co_ci_u32_e32 v16, vcc_lo, s3, v10, vcc_lo
	v_add_co_u32 v17, vcc_lo, s2, v11
	v_add_co_ci_u32_e32 v18, vcc_lo, s3, v12, vcc_lo
	v_add_co_u32 v19, vcc_lo, s4, v11
	v_add_co_ci_u32_e32 v20, vcc_lo, s5, v12, vcc_lo
	global_load_b32 v1, v[13:14], off
	s_clause 0x1
	global_load_b32 v13, v[15:16], off
	global_load_b32 v14, v[17:18], off
	;; [unrolled: 1-line block ×3, first 2 shown]
	v_add_co_u32 v9, s0, s1, v9
	v_cmp_eq_u32_e32 vcc_lo, 0, v8
	v_add_co_ci_u32_e64 v10, s0, s6, v10, s0
	v_add_co_u32 v11, s0, s1, v11
	s_delay_alu instid0(VALU_DEP_1)
	v_add_co_ci_u32_e64 v12, s0, s6, v12, s0
	s_or_b32 s10, vcc_lo, s10
	s_waitcnt vmcnt(3) lgkmcnt(0)
	v_fma_mixlo_f16 v16, v5, v1, 0 op_sel_hi:[0,1,0]
	v_fma_mixlo_f16 v1, v5, v1, 0 op_sel:[0,1,0] op_sel_hi:[0,1,0]
	s_waitcnt vmcnt(1)
	v_perm_b32 v17, v14, v13, 0x5040100
	v_perm_b32 v13, v14, v13, 0x7060302
	s_waitcnt vmcnt(0)
	v_fma_mixhi_f16 v16, v5, v15, 0 op_sel_hi:[0,1,0]
	v_fma_mixhi_f16 v1, v5, v15, 0 op_sel:[0,1,0] op_sel_hi:[0,1,0]
	s_delay_alu instid0(VALU_DEP_2) | instskip(NEXT) | instid1(VALU_DEP_2)
	v_pk_mul_f16 v14, v17, v16
	v_pk_mul_f16 v1, v13, v1
	s_delay_alu instid0(VALU_DEP_1)
	v_pack_b32_f16 v13, v14, v1
	v_perm_b32 v1, v1, v14, 0x7060302
	s_clause 0x1
	global_store_b32 v[9:10], v13, off
	global_store_b32 v[11:12], v1, off
	s_and_not1_b32 exec_lo, exec_lo, s10
	s_cbranch_execnz .LBB23_35
; %bb.36:
	s_or_b32 exec_lo, exec_lo, s10
	v_cmp_ne_u32_e32 vcc_lo, v6, v7
	v_add_nc_u32_e32 v0, v0, v7
	s_and_not1_b32 s0, s7, exec_lo
	s_and_b32 s7, vcc_lo, exec_lo
	s_delay_alu instid0(SALU_CYCLE_1) | instskip(SKIP_1) | instid1(SALU_CYCLE_1)
	s_or_b32 s7, s0, s7
	s_or_b32 exec_lo, exec_lo, s9
	s_and_b32 exec_lo, exec_lo, s7
	s_cbranch_execz .LBB23_39
.LBB23_37:
	v_mov_b32_e32 v1, 0
	s_waitcnt lgkmcnt(0)
	v_mov_b32_e32 v3, v5
	s_mov_b32 s7, 0
	s_lshl_b32 s9, s14, 2
	v_lshlrev_b64 v[1:2], 2, v[0:1]
	.p2align	6
.LBB23_38:                              ; =>This Inner Loop Header: Depth=1
	s_delay_alu instid0(VALU_DEP_1) | instskip(NEXT) | instid1(VALU_DEP_2)
	v_add_co_u32 v6, vcc_lo, s4, v1
	v_add_co_ci_u32_e32 v7, vcc_lo, s5, v2, vcc_lo
	v_add_nc_u32_e32 v0, s14, v0
	global_load_b32 v4, v[6:7], off
	v_add_co_u32 v6, vcc_lo, s2, v1
	v_add_co_ci_u32_e32 v7, vcc_lo, s3, v2, vcc_lo
	v_cmp_le_i32_e64 s0, s8, v0
	global_load_b32 v8, v[6:7], off
	v_add_co_u32 v6, vcc_lo, s1, v1
	v_add_co_ci_u32_e32 v7, vcc_lo, s6, v2, vcc_lo
	v_add_co_u32 v1, vcc_lo, v1, s9
	v_add_co_ci_u32_e32 v2, vcc_lo, 0, v2, vcc_lo
	s_or_b32 s7, s0, s7
	s_waitcnt vmcnt(1)
	v_fma_mixlo_f16 v9, v5, v4, 0 op_sel_hi:[0,1,0]
	s_delay_alu instid0(VALU_DEP_1) | instskip(SKIP_1) | instid1(VALU_DEP_1)
	v_fma_mixhi_f16 v9, v3, v4, 0 op_sel:[0,1,0] op_sel_hi:[0,1,0]
	s_waitcnt vmcnt(0)
	v_pk_mul_f16 v4, v8, v9
	global_store_b32 v[6:7], v4, off
	s_and_not1_b32 exec_lo, exec_lo, s7
	s_cbranch_execnz .LBB23_38
.LBB23_39:
	s_nop 0
	s_sendmsg sendmsg(MSG_DEALLOC_VGPRS)
	s_endpgm
	.section	.rodata,"a",@progbits
	.p2align	6, 0x0
	.amdhsa_kernel _ZN4vllm15rms_norm_kernelIN3c104HalfELi2ELi3EEEvPT_PKS3_lllllS6_fii
		.amdhsa_group_segment_fixed_size 132
		.amdhsa_private_segment_fixed_size 0
		.amdhsa_kernarg_size 336
		.amdhsa_user_sgpr_count 15
		.amdhsa_user_sgpr_dispatch_ptr 0
		.amdhsa_user_sgpr_queue_ptr 0
		.amdhsa_user_sgpr_kernarg_segment_ptr 1
		.amdhsa_user_sgpr_dispatch_id 0
		.amdhsa_user_sgpr_private_segment_size 0
		.amdhsa_wavefront_size32 1
		.amdhsa_uses_dynamic_stack 0
		.amdhsa_enable_private_segment 0
		.amdhsa_system_sgpr_workgroup_id_x 1
		.amdhsa_system_sgpr_workgroup_id_y 0
		.amdhsa_system_sgpr_workgroup_id_z 0
		.amdhsa_system_sgpr_workgroup_info 0
		.amdhsa_system_vgpr_workitem_id 0
		.amdhsa_next_free_vgpr 21
		.amdhsa_next_free_sgpr 24
		.amdhsa_reserve_vcc 1
		.amdhsa_float_round_mode_32 0
		.amdhsa_float_round_mode_16_64 0
		.amdhsa_float_denorm_mode_32 3
		.amdhsa_float_denorm_mode_16_64 3
		.amdhsa_dx10_clamp 1
		.amdhsa_ieee_mode 1
		.amdhsa_fp16_overflow 0
		.amdhsa_workgroup_processor_mode 1
		.amdhsa_memory_ordered 1
		.amdhsa_forward_progress 0
		.amdhsa_shared_vgpr_count 0
		.amdhsa_exception_fp_ieee_invalid_op 0
		.amdhsa_exception_fp_denorm_src 0
		.amdhsa_exception_fp_ieee_div_zero 0
		.amdhsa_exception_fp_ieee_overflow 0
		.amdhsa_exception_fp_ieee_underflow 0
		.amdhsa_exception_fp_ieee_inexact 0
		.amdhsa_exception_int_div_zero 0
	.end_amdhsa_kernel
	.section	.text._ZN4vllm15rms_norm_kernelIN3c104HalfELi2ELi3EEEvPT_PKS3_lllllS6_fii,"axG",@progbits,_ZN4vllm15rms_norm_kernelIN3c104HalfELi2ELi3EEEvPT_PKS3_lllllS6_fii,comdat
.Lfunc_end23:
	.size	_ZN4vllm15rms_norm_kernelIN3c104HalfELi2ELi3EEEvPT_PKS3_lllllS6_fii, .Lfunc_end23-_ZN4vllm15rms_norm_kernelIN3c104HalfELi2ELi3EEEvPT_PKS3_lllllS6_fii
                                        ; -- End function
	.section	.AMDGPU.csdata,"",@progbits
; Kernel info:
; codeLenInByte = 3236
; NumSgprs: 26
; NumVgprs: 21
; ScratchSize: 0
; MemoryBound: 0
; FloatMode: 240
; IeeeMode: 1
; LDSByteSize: 132 bytes/workgroup (compile time only)
; SGPRBlocks: 3
; VGPRBlocks: 2
; NumSGPRsForWavesPerEU: 26
; NumVGPRsForWavesPerEU: 21
; Occupancy: 16
; WaveLimiterHint : 0
; COMPUTE_PGM_RSRC2:SCRATCH_EN: 0
; COMPUTE_PGM_RSRC2:USER_SGPR: 15
; COMPUTE_PGM_RSRC2:TRAP_HANDLER: 0
; COMPUTE_PGM_RSRC2:TGID_X_EN: 1
; COMPUTE_PGM_RSRC2:TGID_Y_EN: 0
; COMPUTE_PGM_RSRC2:TGID_Z_EN: 0
; COMPUTE_PGM_RSRC2:TIDIG_COMP_CNT: 0
	.section	.text._ZN4vllm15rms_norm_kernelIN3c104HalfELi1ELi3EEEvPT_PKS3_lllllS6_fii,"axG",@progbits,_ZN4vllm15rms_norm_kernelIN3c104HalfELi1ELi3EEEvPT_PKS3_lllllS6_fii,comdat
	.protected	_ZN4vllm15rms_norm_kernelIN3c104HalfELi1ELi3EEEvPT_PKS3_lllllS6_fii ; -- Begin function _ZN4vllm15rms_norm_kernelIN3c104HalfELi1ELi3EEEvPT_PKS3_lllllS6_fii
	.globl	_ZN4vllm15rms_norm_kernelIN3c104HalfELi1ELi3EEEvPT_PKS3_lllllS6_fii
	.p2align	8
	.type	_ZN4vllm15rms_norm_kernelIN3c104HalfELi1ELi3EEEvPT_PKS3_lllllS6_fii,@function
_ZN4vllm15rms_norm_kernelIN3c104HalfELi1ELi3EEEvPT_PKS3_lllllS6_fii: ; @_ZN4vllm15rms_norm_kernelIN3c104HalfELi1ELi3EEEvPT_PKS3_lllllS6_fii
; %bb.0:
	s_clause 0x1
	s_load_b64 s[2:3], s[0:1], 0x28
	s_load_b64 s[4:5], s[0:1], 0x8
	s_mov_b32 s6, 0
	s_waitcnt lgkmcnt(0)
	s_mov_b32 s7, s3
	s_delay_alu instid0(SALU_CYCLE_1)
	s_cmp_lg_u64 s[6:7], 0
	s_cbranch_scc0 .LBB24_25
; %bb.1:
	s_ashr_i32 s8, s3, 31
	s_delay_alu instid0(SALU_CYCLE_1) | instskip(SKIP_2) | instid1(SALU_CYCLE_1)
	s_add_u32 s10, s2, s8
	s_mov_b32 s9, s8
	s_addc_u32 s11, s3, s8
	s_xor_b64 s[10:11], s[10:11], s[8:9]
	s_delay_alu instid0(SALU_CYCLE_1) | instskip(SKIP_3) | instid1(VALU_DEP_1)
	v_cvt_f32_u32_e32 v1, s10
	v_cvt_f32_u32_e32 v2, s11
	s_sub_u32 s12, 0, s10
	s_subb_u32 s13, 0, s11
	v_fmamk_f32 v1, v2, 0x4f800000, v1
	s_delay_alu instid0(VALU_DEP_1) | instskip(SKIP_2) | instid1(VALU_DEP_1)
	v_rcp_f32_e32 v1, v1
	s_waitcnt_depctr 0xfff
	v_mul_f32_e32 v1, 0x5f7ffffc, v1
	v_mul_f32_e32 v2, 0x2f800000, v1
	s_delay_alu instid0(VALU_DEP_1) | instskip(NEXT) | instid1(VALU_DEP_1)
	v_trunc_f32_e32 v2, v2
	v_fmamk_f32 v1, v2, 0xcf800000, v1
	v_cvt_u32_f32_e32 v2, v2
	s_delay_alu instid0(VALU_DEP_2) | instskip(NEXT) | instid1(VALU_DEP_2)
	v_cvt_u32_f32_e32 v1, v1
	v_readfirstlane_b32 s3, v2
	s_delay_alu instid0(VALU_DEP_2) | instskip(NEXT) | instid1(VALU_DEP_2)
	v_readfirstlane_b32 s7, v1
	s_mul_i32 s14, s12, s3
	s_delay_alu instid0(VALU_DEP_1)
	s_mul_hi_u32 s17, s12, s7
	s_mul_i32 s16, s13, s7
	s_add_i32 s14, s17, s14
	s_mul_i32 s18, s12, s7
	s_add_i32 s14, s14, s16
	s_mul_hi_u32 s17, s7, s18
	s_mul_hi_u32 s19, s3, s18
	s_mul_i32 s16, s3, s18
	s_mul_hi_u32 s18, s7, s14
	s_mul_i32 s7, s7, s14
	s_mul_hi_u32 s20, s3, s14
	s_add_u32 s7, s17, s7
	s_addc_u32 s17, 0, s18
	s_add_u32 s7, s7, s16
	s_mul_i32 s14, s3, s14
	s_addc_u32 s7, s17, s19
	s_addc_u32 s16, s20, 0
	s_add_u32 s7, s7, s14
	s_addc_u32 s14, 0, s16
	v_add_co_u32 v1, s7, v1, s7
	s_delay_alu instid0(VALU_DEP_1) | instskip(SKIP_1) | instid1(VALU_DEP_1)
	s_cmp_lg_u32 s7, 0
	s_addc_u32 s3, s3, s14
	v_readfirstlane_b32 s7, v1
	s_mul_i32 s14, s12, s3
	s_delay_alu instid0(VALU_DEP_1)
	s_mul_hi_u32 s16, s12, s7
	s_mul_i32 s13, s13, s7
	s_add_i32 s14, s16, s14
	s_mul_i32 s12, s12, s7
	s_add_i32 s14, s14, s13
	s_mul_hi_u32 s16, s3, s12
	s_mul_i32 s17, s3, s12
	s_mul_hi_u32 s12, s7, s12
	s_mul_hi_u32 s18, s7, s14
	s_mul_i32 s7, s7, s14
	s_mul_hi_u32 s13, s3, s14
	s_add_u32 s7, s12, s7
	s_addc_u32 s12, 0, s18
	s_add_u32 s7, s7, s17
	s_mul_i32 s14, s3, s14
	s_addc_u32 s7, s12, s16
	s_addc_u32 s12, s13, 0
	s_add_u32 s7, s7, s14
	s_addc_u32 s12, 0, s12
	v_add_co_u32 v1, s7, v1, s7
	s_delay_alu instid0(VALU_DEP_1) | instskip(SKIP_1) | instid1(VALU_DEP_1)
	s_cmp_lg_u32 s7, 0
	s_addc_u32 s3, s3, s12
	v_readfirstlane_b32 s7, v1
	s_mul_i32 s12, s15, s3
	s_mul_hi_u32 s3, s15, s3
	s_delay_alu instid0(VALU_DEP_1) | instskip(NEXT) | instid1(SALU_CYCLE_1)
	s_mul_hi_u32 s7, s15, s7
	s_add_u32 s7, s7, s12
	s_addc_u32 s3, 0, s3
	s_add_u32 s7, s7, 0
	s_addc_u32 s3, s3, 0
	s_addc_u32 s7, 0, 0
	s_add_u32 s3, s3, 0
	s_addc_u32 s7, 0, s7
	s_mul_hi_u32 s12, s10, s3
	s_mul_i32 s14, s10, s7
	s_mul_i32 s16, s10, s3
	s_add_i32 s12, s12, s14
	v_sub_co_u32 v1, s14, s15, s16
	s_mul_i32 s13, s11, s3
	s_delay_alu instid0(SALU_CYCLE_1) | instskip(NEXT) | instid1(VALU_DEP_1)
	s_add_i32 s12, s12, s13
	v_sub_co_u32 v2, s16, v1, s10
	s_sub_i32 s13, 0, s12
	s_cmp_lg_u32 s14, 0
	s_subb_u32 s13, s13, s11
	s_cmp_lg_u32 s16, 0
	v_readfirstlane_b32 s16, v2
	s_subb_u32 s13, s13, 0
	s_delay_alu instid0(SALU_CYCLE_1) | instskip(SKIP_1) | instid1(VALU_DEP_1)
	s_cmp_ge_u32 s13, s11
	s_cselect_b32 s17, -1, 0
	s_cmp_ge_u32 s16, s10
	s_cselect_b32 s16, -1, 0
	s_cmp_eq_u32 s13, s11
	s_cselect_b32 s13, s16, s17
	s_add_u32 s16, s3, 1
	s_addc_u32 s17, s7, 0
	s_add_u32 s18, s3, 2
	s_addc_u32 s19, s7, 0
	s_cmp_lg_u32 s13, 0
	s_cselect_b32 s13, s18, s16
	s_cselect_b32 s16, s19, s17
	s_cmp_lg_u32 s14, 0
	v_readfirstlane_b32 s14, v1
	s_subb_u32 s12, 0, s12
	s_delay_alu instid0(SALU_CYCLE_1) | instskip(SKIP_1) | instid1(VALU_DEP_1)
	s_cmp_ge_u32 s12, s11
	s_cselect_b32 s17, -1, 0
	s_cmp_ge_u32 s14, s10
	s_cselect_b32 s10, -1, 0
	s_cmp_eq_u32 s12, s11
	s_cselect_b32 s10, s10, s17
	s_delay_alu instid0(SALU_CYCLE_1) | instskip(SKIP_2) | instid1(SALU_CYCLE_1)
	s_cmp_lg_u32 s10, 0
	s_cselect_b32 s11, s16, s7
	s_cselect_b32 s10, s13, s3
	s_xor_b64 s[10:11], s[10:11], s[8:9]
	s_delay_alu instid0(SALU_CYCLE_1)
	s_sub_u32 s10, s10, s8
	s_subb_u32 s11, s11, s8
	s_and_not1_b32 vcc_lo, exec_lo, s6
	s_cbranch_vccnz .LBB24_3
.LBB24_2:
	v_cvt_f32_u32_e32 v1, s2
	s_sub_i32 s6, 0, s2
	s_mov_b32 s11, 0
	s_delay_alu instid0(VALU_DEP_1) | instskip(SKIP_2) | instid1(VALU_DEP_1)
	v_rcp_iflag_f32_e32 v1, v1
	s_waitcnt_depctr 0xfff
	v_mul_f32_e32 v1, 0x4f7ffffe, v1
	v_cvt_u32_f32_e32 v1, v1
	s_delay_alu instid0(VALU_DEP_1) | instskip(NEXT) | instid1(VALU_DEP_1)
	v_readfirstlane_b32 s3, v1
	s_mul_i32 s6, s6, s3
	s_delay_alu instid0(SALU_CYCLE_1) | instskip(NEXT) | instid1(SALU_CYCLE_1)
	s_mul_hi_u32 s6, s3, s6
	s_add_i32 s3, s3, s6
	s_delay_alu instid0(SALU_CYCLE_1) | instskip(NEXT) | instid1(SALU_CYCLE_1)
	s_mul_hi_u32 s3, s15, s3
	s_mul_i32 s6, s3, s2
	s_add_i32 s7, s3, 1
	s_sub_i32 s6, s15, s6
	s_delay_alu instid0(SALU_CYCLE_1)
	s_sub_i32 s8, s6, s2
	s_cmp_ge_u32 s6, s2
	s_cselect_b32 s3, s7, s3
	s_cselect_b32 s6, s8, s6
	s_add_i32 s7, s3, 1
	s_cmp_ge_u32 s6, s2
	s_cselect_b32 s10, s7, s3
.LBB24_3:
	s_load_b128 s[16:19], s[0:1], 0x10
	s_mul_i32 s6, s10, s2
	s_bfe_i64 s[2:3], s[10:11], 0x200000
	s_clause 0x1
	s_load_b32 s11, s[0:1], 0x48
	s_load_b32 s13, s[0:1], 0x5c
	s_sub_i32 s8, s15, s6
	s_waitcnt lgkmcnt(0)
	s_mul_i32 s2, s10, s19
	s_mul_hi_u32 s6, s10, s18
	s_mul_i32 s3, s3, s18
	s_add_i32 s6, s6, s2
	s_mul_i32 s2, s10, s18
	s_add_i32 s3, s6, s3
	s_mul_i32 s9, s8, s17
	s_lshl_b64 s[6:7], s[2:3], 1
	s_mul_hi_u32 s2, s8, s16
	s_add_u32 s10, s4, s6
	s_addc_u32 s12, s5, s7
	s_ashr_i32 s3, s8, 31
	s_add_i32 s9, s2, s9
	s_mul_i32 s3, s3, s16
	s_mul_i32 s2, s8, s16
	s_add_i32 s3, s9, s3
	s_delay_alu instid0(SALU_CYCLE_1) | instskip(NEXT) | instid1(SALU_CYCLE_1)
	s_lshl_b64 s[8:9], s[2:3], 1
	s_add_u32 s10, s10, s8
	s_addc_u32 s12, s12, s9
	s_and_b32 s13, s13, 0xffff
	s_bitcmp1_b32 s10, 0
	s_cselect_b32 s2, -1, 0
	s_delay_alu instid0(SALU_CYCLE_1)
	s_and_b32 vcc_lo, exec_lo, s2
	s_cbranch_vccz .LBB24_9
; %bb.4:
	v_mov_b32_e32 v3, 0
	s_min_i32 s2, s11, 0
	s_mov_b32 s14, 0
	s_sub_i32 s17, s11, s2
	s_mov_b32 s16, exec_lo
	v_cmpx_gt_i32_e64 s17, v0
	s_cbranch_execz .LBB24_8
; %bb.5:
	s_ashr_i32 s3, s2, 31
	s_add_u32 s18, s8, s6
	s_addc_u32 s19, s9, s7
	s_lshl_b64 s[2:3], s[2:3], 1
	v_dual_mov_b32 v4, v0 :: v_dual_lshlrev_b32 v1, 1, v0
	s_add_u32 s2, s18, s2
	s_addc_u32 s3, s19, s3
	s_add_u32 s2, s4, s2
	s_addc_u32 s3, s5, s3
	v_add_co_u32 v1, s2, s2, v1
	s_delay_alu instid0(VALU_DEP_1)
	v_add_co_ci_u32_e64 v2, null, s3, 0, s2
	v_mov_b32_e32 v3, 0
	s_mov_b32 s3, 0
	s_lshl_b32 s18, s13, 1
.LBB24_6:                               ; =>This Inner Loop Header: Depth=1
	global_load_u16 v5, v[1:2], off
	v_add_nc_u32_e32 v4, s13, v4
	v_add_co_u32 v1, vcc_lo, v1, s18
	v_add_co_ci_u32_e32 v2, vcc_lo, 0, v2, vcc_lo
	s_delay_alu instid0(VALU_DEP_3) | instskip(NEXT) | instid1(VALU_DEP_1)
	v_cmp_le_i32_e64 s2, s17, v4
	s_or_b32 s3, s2, s3
	s_waitcnt vmcnt(0)
	v_fma_mix_f32 v3, v5, v5, v3 op_sel_hi:[1,1,0]
	s_and_not1_b32 exec_lo, exec_lo, s3
	s_cbranch_execnz .LBB24_6
; %bb.7:
	s_or_b32 exec_lo, exec_lo, s3
.LBB24_8:
	s_delay_alu instid0(SALU_CYCLE_1)
	s_or_b32 exec_lo, exec_lo, s16
	v_cmp_gt_i32_e64 s2, s11, v0
	s_and_not1_b32 vcc_lo, exec_lo, s14
	s_cbranch_vccz .LBB24_10
	s_branch .LBB24_15
.LBB24_9:
                                        ; implicit-def: $vgpr3
	v_cmp_gt_i32_e64 s2, s11, v0
.LBB24_10:
	v_mov_b32_e32 v3, 0
	s_delay_alu instid0(VALU_DEP_2)
	s_and_saveexec_b32 s3, s2
	s_cbranch_execz .LBB24_14
; %bb.11:
	v_dual_mov_b32 v4, v0 :: v_dual_lshlrev_b32 v1, 1, v0
	s_add_u32 s2, s8, s6
	s_addc_u32 s6, s9, s7
	s_add_u32 s2, s4, s2
	s_addc_u32 s4, s5, s6
	v_add_co_u32 v1, s2, s2, v1
	s_delay_alu instid0(VALU_DEP_1)
	v_add_co_ci_u32_e64 v2, null, s4, 0, s2
	v_mov_b32_e32 v3, 0
	s_mov_b32 s4, 0
	s_lshl_b32 s5, s13, 1
.LBB24_12:                              ; =>This Inner Loop Header: Depth=1
	global_load_u16 v5, v[1:2], off
	v_add_nc_u32_e32 v4, s13, v4
	v_add_co_u32 v1, vcc_lo, v1, s5
	v_add_co_ci_u32_e32 v2, vcc_lo, 0, v2, vcc_lo
	s_delay_alu instid0(VALU_DEP_3) | instskip(NEXT) | instid1(VALU_DEP_1)
	v_cmp_le_i32_e64 s2, s11, v4
	s_or_b32 s4, s2, s4
	s_waitcnt vmcnt(0)
	v_fma_mix_f32 v3, v5, v5, v3 op_sel_hi:[1,1,0]
	s_and_not1_b32 exec_lo, exec_lo, s4
	s_cbranch_execnz .LBB24_12
; %bb.13:
	s_or_b32 exec_lo, exec_lo, s4
.LBB24_14:
	s_delay_alu instid0(SALU_CYCLE_1)
	s_or_b32 exec_lo, exec_lo, s3
.LBB24_15:
	v_mbcnt_lo_u32_b32 v1, -1, 0
	s_mov_b32 s2, exec_lo
	s_delay_alu instid0(VALU_DEP_1) | instskip(SKIP_2) | instid1(VALU_DEP_2)
	v_cmp_ne_u32_e32 vcc_lo, 31, v1
	v_add_co_ci_u32_e32 v2, vcc_lo, 0, v1, vcc_lo
	v_cmp_gt_u32_e32 vcc_lo, 30, v1
	v_lshlrev_b32_e32 v2, 2, v2
	v_cndmask_b32_e64 v6, 0, 1, vcc_lo
	ds_bpermute_b32 v5, v2, v3
	s_waitcnt lgkmcnt(0)
	v_dual_add_f32 v7, v3, v5 :: v_dual_and_b32 v4, 0x3e0, v0
	s_delay_alu instid0(VALU_DEP_1) | instskip(SKIP_1) | instid1(VALU_DEP_1)
	v_sub_nc_u32_e64 v12, s13, v4 clamp
	v_add_nc_u32_e32 v4, 1, v1
	v_cmp_lt_u32_e32 vcc_lo, v4, v12
	s_delay_alu instid0(VALU_DEP_4) | instskip(SKIP_2) | instid1(VALU_DEP_1)
	v_cndmask_b32_e32 v7, v3, v7, vcc_lo
	v_cmp_gt_u32_e32 vcc_lo, 28, v1
	v_cndmask_b32_e64 v3, 0, 1, vcc_lo
	v_lshlrev_b32_e32 v8, 2, v3
	v_add_nc_u32_e32 v3, 2, v1
	s_delay_alu instid0(VALU_DEP_1) | instskip(SKIP_1) | instid1(VALU_DEP_1)
	v_cmp_lt_u32_e32 vcc_lo, v3, v12
	v_lshlrev_b32_e32 v6, 1, v6
	v_add_lshl_u32 v5, v6, v1, 2
	ds_bpermute_b32 v6, v5, v7
	s_waitcnt lgkmcnt(0)
	v_add_f32_e32 v9, v7, v6
	v_add_lshl_u32 v6, v8, v1, 2
	s_delay_alu instid0(VALU_DEP_2) | instskip(SKIP_3) | instid1(VALU_DEP_1)
	v_cndmask_b32_e32 v9, v7, v9, vcc_lo
	v_cmp_gt_u32_e32 vcc_lo, 24, v1
	ds_bpermute_b32 v8, v6, v9
	v_cndmask_b32_e64 v7, 0, 1, vcc_lo
	v_lshlrev_b32_e32 v10, 3, v7
	v_add_nc_u32_e32 v7, 4, v1
	s_delay_alu instid0(VALU_DEP_1) | instskip(SKIP_3) | instid1(VALU_DEP_2)
	v_cmp_lt_u32_e32 vcc_lo, v7, v12
	s_waitcnt lgkmcnt(0)
	v_add_f32_e32 v11, v9, v8
	v_add_lshl_u32 v8, v10, v1, 2
	v_cndmask_b32_e32 v11, v9, v11, vcc_lo
	v_cmp_gt_u32_e32 vcc_lo, 16, v1
	ds_bpermute_b32 v10, v8, v11
	v_cndmask_b32_e64 v9, 0, 1, vcc_lo
	s_delay_alu instid0(VALU_DEP_1) | instskip(SKIP_1) | instid1(VALU_DEP_1)
	v_lshlrev_b32_e32 v13, 4, v9
	v_add_nc_u32_e32 v9, 8, v1
	v_cmp_lt_u32_e32 vcc_lo, v9, v12
	s_waitcnt lgkmcnt(0)
	v_add_f32_e32 v14, v11, v10
	v_add_lshl_u32 v10, v13, v1, 2
	s_delay_alu instid0(VALU_DEP_2)
	v_cndmask_b32_e32 v13, v11, v14, vcc_lo
	v_add_nc_u32_e32 v11, 16, v1
	ds_bpermute_b32 v14, v10, v13
	v_cmp_lt_u32_e32 vcc_lo, v11, v12
	s_waitcnt lgkmcnt(0)
	v_add_f32_e32 v14, v13, v14
	s_delay_alu instid0(VALU_DEP_1)
	v_cndmask_b32_e32 v12, v13, v14, vcc_lo
	v_cmpx_eq_u32_e32 0, v1
	s_cbranch_execz .LBB24_17
; %bb.16:
	v_lshrrev_b32_e32 v13, 3, v0
	s_delay_alu instid0(VALU_DEP_1)
	v_and_b32_e32 v13, 0x7c, v13
	ds_store_b32 v13, v12
.LBB24_17:
	s_or_b32 exec_lo, exec_lo, s2
	s_delay_alu instid0(SALU_CYCLE_1)
	s_mov_b32 s2, exec_lo
	s_waitcnt lgkmcnt(0)
	s_barrier
	buffer_gl0_inv
	v_cmpx_gt_u32_e32 32, v0
	s_cbranch_execz .LBB24_19
; %bb.18:
	v_lshlrev_b32_e32 v1, 2, v1
	s_add_i32 s3, s13, 31
	s_delay_alu instid0(SALU_CYCLE_1) | instskip(NEXT) | instid1(SALU_CYCLE_1)
	s_lshr_b32 s3, s3, 5
	v_cmp_gt_u32_e32 vcc_lo, s3, v4
	ds_load_b32 v1, v1
	s_waitcnt lgkmcnt(0)
	ds_bpermute_b32 v2, v2, v1
	s_waitcnt lgkmcnt(0)
	v_add_f32_e32 v2, v1, v2
	s_delay_alu instid0(VALU_DEP_1) | instskip(SKIP_4) | instid1(VALU_DEP_1)
	v_cndmask_b32_e32 v1, v1, v2, vcc_lo
	v_cmp_gt_u32_e32 vcc_lo, s3, v3
	ds_bpermute_b32 v2, v5, v1
	s_waitcnt lgkmcnt(0)
	v_add_f32_e32 v2, v1, v2
	v_cndmask_b32_e32 v1, v1, v2, vcc_lo
	v_cmp_gt_u32_e32 vcc_lo, s3, v7
	ds_bpermute_b32 v2, v6, v1
	s_waitcnt lgkmcnt(0)
	v_add_f32_e32 v2, v1, v2
	s_delay_alu instid0(VALU_DEP_1) | instskip(SKIP_4) | instid1(VALU_DEP_1)
	v_cndmask_b32_e32 v1, v1, v2, vcc_lo
	v_cmp_gt_u32_e32 vcc_lo, s3, v9
	ds_bpermute_b32 v2, v8, v1
	s_waitcnt lgkmcnt(0)
	v_add_f32_e32 v2, v1, v2
	v_cndmask_b32_e32 v1, v1, v2, vcc_lo
	v_cmp_gt_u32_e32 vcc_lo, s3, v11
	ds_bpermute_b32 v2, v10, v1
	s_waitcnt lgkmcnt(0)
	v_add_f32_e32 v2, v1, v2
	s_delay_alu instid0(VALU_DEP_1)
	v_cndmask_b32_e32 v12, v1, v2, vcc_lo
.LBB24_19:
	s_or_b32 exec_lo, exec_lo, s2
	s_delay_alu instid0(SALU_CYCLE_1)
	s_mov_b32 s2, exec_lo
	v_cmpx_eq_u32_e32 0, v0
	s_cbranch_execz .LBB24_21
; %bb.20:
	v_cvt_f32_i32_e32 v1, s11
	s_load_b32 s3, s[0:1], 0x40
	s_delay_alu instid0(VALU_DEP_1) | instskip(SKIP_1) | instid1(VALU_DEP_2)
	v_div_scale_f32 v2, null, v1, v1, v12
	v_div_scale_f32 v5, vcc_lo, v12, v1, v12
	v_rcp_f32_e32 v3, v2
	s_waitcnt_depctr 0xfff
	v_fma_f32 v4, -v2, v3, 1.0
	s_delay_alu instid0(VALU_DEP_1) | instskip(NEXT) | instid1(VALU_DEP_1)
	v_fmac_f32_e32 v3, v4, v3
	v_mul_f32_e32 v4, v5, v3
	s_delay_alu instid0(VALU_DEP_1) | instskip(NEXT) | instid1(VALU_DEP_1)
	v_fma_f32 v6, -v2, v4, v5
	v_fmac_f32_e32 v4, v6, v3
	s_delay_alu instid0(VALU_DEP_1) | instskip(NEXT) | instid1(VALU_DEP_1)
	v_fma_f32 v2, -v2, v4, v5
	v_div_fmas_f32 v2, v2, v3, v4
	s_delay_alu instid0(VALU_DEP_1) | instskip(SKIP_1) | instid1(VALU_DEP_1)
	v_div_fixup_f32 v1, v2, v1, v12
	s_waitcnt lgkmcnt(0)
	v_add_f32_e32 v1, s3, v1
	s_delay_alu instid0(VALU_DEP_1) | instskip(SKIP_1) | instid1(VALU_DEP_2)
	v_mul_f32_e32 v2, 0x4b800000, v1
	v_cmp_gt_f32_e32 vcc_lo, 0x800000, v1
	v_cndmask_b32_e32 v1, v1, v2, vcc_lo
	s_delay_alu instid0(VALU_DEP_1) | instskip(SKIP_2) | instid1(VALU_DEP_1)
	v_rsq_f32_e32 v1, v1
	s_waitcnt_depctr 0xfff
	v_mul_f32_e32 v2, 0x45800000, v1
	v_dual_cndmask_b32 v1, v1, v2 :: v_dual_mov_b32 v2, 0
	ds_store_b32 v2, v1 offset:128
.LBB24_21:
	s_or_b32 exec_lo, exec_lo, s2
	s_waitcnt lgkmcnt(0)
	s_barrier
	buffer_gl0_inv
	s_mov_b32 s2, exec_lo
	v_cmpx_gt_i32_e64 s11, v0
	s_cbranch_execz .LBB24_24
; %bb.22:
	v_mov_b32_e32 v1, 0
	s_clause 0x1
	s_load_b64 s[4:5], s[0:1], 0x0
	s_load_b64 s[2:3], s[0:1], 0x38
	s_mul_i32 s0, s15, s11
	s_mov_b32 s1, 0
	s_delay_alu instid0(SALU_CYCLE_1)
	s_lshl_b64 s[6:7], s[0:1], 1
	ds_load_b32 v2, v1 offset:128
	s_waitcnt lgkmcnt(0)
	s_add_u32 s4, s4, s6
	s_addc_u32 s5, s5, s7
	.p2align	6
.LBB24_23:                              ; =>This Inner Loop Header: Depth=1
	v_ashrrev_i32_e32 v1, 31, v0
	s_delay_alu instid0(VALU_DEP_1) | instskip(SKIP_1) | instid1(VALU_DEP_2)
	v_lshlrev_b64 v[3:4], 1, v[0:1]
	v_add_nc_u32_e32 v0, s13, v0
	v_add_co_u32 v5, vcc_lo, s10, v3
	s_delay_alu instid0(VALU_DEP_3)
	v_add_co_ci_u32_e32 v6, vcc_lo, s12, v4, vcc_lo
	v_add_co_u32 v7, vcc_lo, s2, v3
	v_add_co_ci_u32_e32 v8, vcc_lo, s3, v4, vcc_lo
	v_cmp_le_i32_e32 vcc_lo, s11, v0
	global_load_u16 v1, v[5:6], off
	global_load_u16 v5, v[7:8], off
	v_add_co_u32 v3, s0, s4, v3
	s_delay_alu instid0(VALU_DEP_1) | instskip(SKIP_4) | instid1(VALU_DEP_1)
	v_add_co_ci_u32_e64 v4, s0, s5, v4, s0
	s_or_b32 s1, vcc_lo, s1
	s_waitcnt vmcnt(1)
	v_fma_mixlo_f16 v1, v2, v1, 0 op_sel_hi:[0,1,0]
	s_waitcnt vmcnt(0)
	v_mul_f16_e32 v1, v5, v1
	global_store_b16 v[3:4], v1, off
	s_and_not1_b32 exec_lo, exec_lo, s1
	s_cbranch_execnz .LBB24_23
.LBB24_24:
	s_nop 0
	s_sendmsg sendmsg(MSG_DEALLOC_VGPRS)
	s_endpgm
.LBB24_25:
                                        ; implicit-def: $sgpr10_sgpr11
	s_branch .LBB24_2
	.section	.rodata,"a",@progbits
	.p2align	6, 0x0
	.amdhsa_kernel _ZN4vllm15rms_norm_kernelIN3c104HalfELi1ELi3EEEvPT_PKS3_lllllS6_fii
		.amdhsa_group_segment_fixed_size 132
		.amdhsa_private_segment_fixed_size 0
		.amdhsa_kernarg_size 336
		.amdhsa_user_sgpr_count 15
		.amdhsa_user_sgpr_dispatch_ptr 0
		.amdhsa_user_sgpr_queue_ptr 0
		.amdhsa_user_sgpr_kernarg_segment_ptr 1
		.amdhsa_user_sgpr_dispatch_id 0
		.amdhsa_user_sgpr_private_segment_size 0
		.amdhsa_wavefront_size32 1
		.amdhsa_uses_dynamic_stack 0
		.amdhsa_enable_private_segment 0
		.amdhsa_system_sgpr_workgroup_id_x 1
		.amdhsa_system_sgpr_workgroup_id_y 0
		.amdhsa_system_sgpr_workgroup_id_z 0
		.amdhsa_system_sgpr_workgroup_info 0
		.amdhsa_system_vgpr_workitem_id 0
		.amdhsa_next_free_vgpr 15
		.amdhsa_next_free_sgpr 21
		.amdhsa_reserve_vcc 1
		.amdhsa_float_round_mode_32 0
		.amdhsa_float_round_mode_16_64 0
		.amdhsa_float_denorm_mode_32 3
		.amdhsa_float_denorm_mode_16_64 3
		.amdhsa_dx10_clamp 1
		.amdhsa_ieee_mode 1
		.amdhsa_fp16_overflow 0
		.amdhsa_workgroup_processor_mode 1
		.amdhsa_memory_ordered 1
		.amdhsa_forward_progress 0
		.amdhsa_shared_vgpr_count 0
		.amdhsa_exception_fp_ieee_invalid_op 0
		.amdhsa_exception_fp_denorm_src 0
		.amdhsa_exception_fp_ieee_div_zero 0
		.amdhsa_exception_fp_ieee_overflow 0
		.amdhsa_exception_fp_ieee_underflow 0
		.amdhsa_exception_fp_ieee_inexact 0
		.amdhsa_exception_int_div_zero 0
	.end_amdhsa_kernel
	.section	.text._ZN4vllm15rms_norm_kernelIN3c104HalfELi1ELi3EEEvPT_PKS3_lllllS6_fii,"axG",@progbits,_ZN4vllm15rms_norm_kernelIN3c104HalfELi1ELi3EEEvPT_PKS3_lllllS6_fii,comdat
.Lfunc_end24:
	.size	_ZN4vllm15rms_norm_kernelIN3c104HalfELi1ELi3EEEvPT_PKS3_lllllS6_fii, .Lfunc_end24-_ZN4vllm15rms_norm_kernelIN3c104HalfELi1ELi3EEEvPT_PKS3_lllllS6_fii
                                        ; -- End function
	.section	.AMDGPU.csdata,"",@progbits
; Kernel info:
; codeLenInByte = 2220
; NumSgprs: 23
; NumVgprs: 15
; ScratchSize: 0
; MemoryBound: 0
; FloatMode: 240
; IeeeMode: 1
; LDSByteSize: 132 bytes/workgroup (compile time only)
; SGPRBlocks: 2
; VGPRBlocks: 1
; NumSGPRsForWavesPerEU: 23
; NumVGPRsForWavesPerEU: 15
; Occupancy: 16
; WaveLimiterHint : 0
; COMPUTE_PGM_RSRC2:SCRATCH_EN: 0
; COMPUTE_PGM_RSRC2:USER_SGPR: 15
; COMPUTE_PGM_RSRC2:TRAP_HANDLER: 0
; COMPUTE_PGM_RSRC2:TGID_X_EN: 1
; COMPUTE_PGM_RSRC2:TGID_Y_EN: 0
; COMPUTE_PGM_RSRC2:TGID_Z_EN: 0
; COMPUTE_PGM_RSRC2:TIDIG_COMP_CNT: 0
	.section	.text._ZN4vllm15rms_norm_kernelIN3c108BFloat16ELi16ELi3EEEvPT_PKS3_lllllS6_fii,"axG",@progbits,_ZN4vllm15rms_norm_kernelIN3c108BFloat16ELi16ELi3EEEvPT_PKS3_lllllS6_fii,comdat
	.protected	_ZN4vllm15rms_norm_kernelIN3c108BFloat16ELi16ELi3EEEvPT_PKS3_lllllS6_fii ; -- Begin function _ZN4vllm15rms_norm_kernelIN3c108BFloat16ELi16ELi3EEEvPT_PKS3_lllllS6_fii
	.globl	_ZN4vllm15rms_norm_kernelIN3c108BFloat16ELi16ELi3EEEvPT_PKS3_lllllS6_fii
	.p2align	8
	.type	_ZN4vllm15rms_norm_kernelIN3c108BFloat16ELi16ELi3EEEvPT_PKS3_lllllS6_fii,@function
_ZN4vllm15rms_norm_kernelIN3c108BFloat16ELi16ELi3EEEvPT_PKS3_lllllS6_fii: ; @_ZN4vllm15rms_norm_kernelIN3c108BFloat16ELi16ELi3EEEvPT_PKS3_lllllS6_fii
; %bb.0:
	s_clause 0x1
	s_load_b64 s[2:3], s[0:1], 0x28
	s_load_b64 s[4:5], s[0:1], 0x8
	s_mov_b32 s6, 0
	s_waitcnt lgkmcnt(0)
	s_mov_b32 s7, s3
	s_delay_alu instid0(SALU_CYCLE_1)
	s_cmp_lg_u64 s[6:7], 0
	s_cbranch_scc0 .LBB25_33
; %bb.1:
	s_ashr_i32 s8, s3, 31
	s_delay_alu instid0(SALU_CYCLE_1) | instskip(SKIP_2) | instid1(SALU_CYCLE_1)
	s_add_u32 s10, s2, s8
	s_mov_b32 s9, s8
	s_addc_u32 s11, s3, s8
	s_xor_b64 s[10:11], s[10:11], s[8:9]
	s_delay_alu instid0(SALU_CYCLE_1) | instskip(SKIP_3) | instid1(VALU_DEP_1)
	v_cvt_f32_u32_e32 v1, s10
	v_cvt_f32_u32_e32 v2, s11
	s_sub_u32 s12, 0, s10
	s_subb_u32 s13, 0, s11
	v_fmamk_f32 v1, v2, 0x4f800000, v1
	s_delay_alu instid0(VALU_DEP_1) | instskip(SKIP_2) | instid1(VALU_DEP_1)
	v_rcp_f32_e32 v1, v1
	s_waitcnt_depctr 0xfff
	v_mul_f32_e32 v1, 0x5f7ffffc, v1
	v_mul_f32_e32 v2, 0x2f800000, v1
	s_delay_alu instid0(VALU_DEP_1) | instskip(NEXT) | instid1(VALU_DEP_1)
	v_trunc_f32_e32 v2, v2
	v_fmamk_f32 v1, v2, 0xcf800000, v1
	v_cvt_u32_f32_e32 v2, v2
	s_delay_alu instid0(VALU_DEP_2) | instskip(NEXT) | instid1(VALU_DEP_2)
	v_cvt_u32_f32_e32 v1, v1
	v_readfirstlane_b32 s3, v2
	s_delay_alu instid0(VALU_DEP_2) | instskip(NEXT) | instid1(VALU_DEP_2)
	v_readfirstlane_b32 s7, v1
	s_mul_i32 s14, s12, s3
	s_delay_alu instid0(VALU_DEP_1)
	s_mul_hi_u32 s17, s12, s7
	s_mul_i32 s16, s13, s7
	s_add_i32 s14, s17, s14
	s_mul_i32 s18, s12, s7
	s_add_i32 s14, s14, s16
	s_mul_hi_u32 s17, s7, s18
	s_mul_hi_u32 s19, s3, s18
	s_mul_i32 s16, s3, s18
	s_mul_hi_u32 s18, s7, s14
	s_mul_i32 s7, s7, s14
	s_mul_hi_u32 s20, s3, s14
	s_add_u32 s7, s17, s7
	s_addc_u32 s17, 0, s18
	s_add_u32 s7, s7, s16
	s_mul_i32 s14, s3, s14
	s_addc_u32 s7, s17, s19
	s_addc_u32 s16, s20, 0
	s_add_u32 s7, s7, s14
	s_addc_u32 s14, 0, s16
	v_add_co_u32 v1, s7, v1, s7
	s_delay_alu instid0(VALU_DEP_1) | instskip(SKIP_1) | instid1(VALU_DEP_1)
	s_cmp_lg_u32 s7, 0
	s_addc_u32 s3, s3, s14
	v_readfirstlane_b32 s7, v1
	s_mul_i32 s14, s12, s3
	s_delay_alu instid0(VALU_DEP_1)
	s_mul_hi_u32 s16, s12, s7
	s_mul_i32 s13, s13, s7
	s_add_i32 s14, s16, s14
	s_mul_i32 s12, s12, s7
	s_add_i32 s14, s14, s13
	s_mul_hi_u32 s16, s3, s12
	s_mul_i32 s17, s3, s12
	s_mul_hi_u32 s12, s7, s12
	s_mul_hi_u32 s18, s7, s14
	s_mul_i32 s7, s7, s14
	s_mul_hi_u32 s13, s3, s14
	s_add_u32 s7, s12, s7
	s_addc_u32 s12, 0, s18
	s_add_u32 s7, s7, s17
	s_mul_i32 s14, s3, s14
	s_addc_u32 s7, s12, s16
	s_addc_u32 s12, s13, 0
	s_add_u32 s7, s7, s14
	s_addc_u32 s12, 0, s12
	v_add_co_u32 v1, s7, v1, s7
	s_delay_alu instid0(VALU_DEP_1) | instskip(SKIP_1) | instid1(VALU_DEP_1)
	s_cmp_lg_u32 s7, 0
	s_addc_u32 s3, s3, s12
	v_readfirstlane_b32 s7, v1
	s_mul_i32 s12, s15, s3
	s_mul_hi_u32 s3, s15, s3
	s_delay_alu instid0(VALU_DEP_1) | instskip(NEXT) | instid1(SALU_CYCLE_1)
	s_mul_hi_u32 s7, s15, s7
	s_add_u32 s7, s7, s12
	s_addc_u32 s3, 0, s3
	s_add_u32 s7, s7, 0
	s_addc_u32 s3, s3, 0
	s_addc_u32 s7, 0, 0
	s_add_u32 s3, s3, 0
	s_addc_u32 s7, 0, s7
	s_mul_hi_u32 s12, s10, s3
	s_mul_i32 s14, s10, s7
	s_mul_i32 s16, s10, s3
	s_add_i32 s12, s12, s14
	v_sub_co_u32 v1, s14, s15, s16
	s_mul_i32 s13, s11, s3
	s_delay_alu instid0(SALU_CYCLE_1) | instskip(NEXT) | instid1(VALU_DEP_1)
	s_add_i32 s12, s12, s13
	v_sub_co_u32 v2, s16, v1, s10
	s_sub_i32 s13, 0, s12
	s_cmp_lg_u32 s14, 0
	s_subb_u32 s13, s13, s11
	s_cmp_lg_u32 s16, 0
	v_readfirstlane_b32 s16, v2
	s_subb_u32 s13, s13, 0
	s_delay_alu instid0(SALU_CYCLE_1) | instskip(SKIP_1) | instid1(VALU_DEP_1)
	s_cmp_ge_u32 s13, s11
	s_cselect_b32 s17, -1, 0
	s_cmp_ge_u32 s16, s10
	s_cselect_b32 s16, -1, 0
	s_cmp_eq_u32 s13, s11
	s_cselect_b32 s13, s16, s17
	s_add_u32 s16, s3, 1
	s_addc_u32 s17, s7, 0
	s_add_u32 s18, s3, 2
	s_addc_u32 s19, s7, 0
	s_cmp_lg_u32 s13, 0
	s_cselect_b32 s13, s18, s16
	s_cselect_b32 s16, s19, s17
	s_cmp_lg_u32 s14, 0
	v_readfirstlane_b32 s14, v1
	s_subb_u32 s12, 0, s12
	s_delay_alu instid0(SALU_CYCLE_1) | instskip(SKIP_1) | instid1(VALU_DEP_1)
	s_cmp_ge_u32 s12, s11
	s_cselect_b32 s17, -1, 0
	s_cmp_ge_u32 s14, s10
	s_cselect_b32 s10, -1, 0
	s_cmp_eq_u32 s12, s11
	s_cselect_b32 s10, s10, s17
	s_delay_alu instid0(SALU_CYCLE_1) | instskip(SKIP_2) | instid1(SALU_CYCLE_1)
	s_cmp_lg_u32 s10, 0
	s_cselect_b32 s11, s16, s7
	s_cselect_b32 s10, s13, s3
	s_xor_b64 s[10:11], s[10:11], s[8:9]
	s_delay_alu instid0(SALU_CYCLE_1)
	s_sub_u32 s10, s10, s8
	s_subb_u32 s11, s11, s8
	s_and_not1_b32 vcc_lo, exec_lo, s6
	s_cbranch_vccnz .LBB25_3
.LBB25_2:
	v_cvt_f32_u32_e32 v1, s2
	s_sub_i32 s6, 0, s2
	s_mov_b32 s11, 0
	s_delay_alu instid0(VALU_DEP_1) | instskip(SKIP_2) | instid1(VALU_DEP_1)
	v_rcp_iflag_f32_e32 v1, v1
	s_waitcnt_depctr 0xfff
	v_mul_f32_e32 v1, 0x4f7ffffe, v1
	v_cvt_u32_f32_e32 v1, v1
	s_delay_alu instid0(VALU_DEP_1) | instskip(NEXT) | instid1(VALU_DEP_1)
	v_readfirstlane_b32 s3, v1
	s_mul_i32 s6, s6, s3
	s_delay_alu instid0(SALU_CYCLE_1) | instskip(NEXT) | instid1(SALU_CYCLE_1)
	s_mul_hi_u32 s6, s3, s6
	s_add_i32 s3, s3, s6
	s_delay_alu instid0(SALU_CYCLE_1) | instskip(NEXT) | instid1(SALU_CYCLE_1)
	s_mul_hi_u32 s3, s15, s3
	s_mul_i32 s6, s3, s2
	s_add_i32 s7, s3, 1
	s_sub_i32 s6, s15, s6
	s_delay_alu instid0(SALU_CYCLE_1)
	s_sub_i32 s8, s6, s2
	s_cmp_ge_u32 s6, s2
	s_cselect_b32 s3, s7, s3
	s_cselect_b32 s6, s8, s6
	s_add_i32 s7, s3, 1
	s_cmp_ge_u32 s6, s2
	s_cselect_b32 s10, s7, s3
.LBB25_3:
	s_load_b128 s[16:19], s[0:1], 0x10
	s_bfe_i64 s[6:7], s[10:11], 0x200000
	s_clause 0x1
	s_load_b32 s3, s[0:1], 0x48
	s_load_b32 s12, s[0:1], 0x5c
	s_mul_i32 s2, s10, s2
	s_delay_alu instid0(SALU_CYCLE_1)
	s_sub_i32 s2, s15, s2
	s_waitcnt lgkmcnt(0)
	s_mul_i32 s6, s10, s19
	s_mul_hi_u32 s8, s10, s18
	s_mul_i32 s7, s7, s18
	s_add_i32 s8, s8, s6
	s_mul_i32 s6, s10, s18
	s_add_i32 s7, s8, s7
	s_mul_i32 s8, s2, s17
	s_lshl_b64 s[6:7], s[6:7], 1
	s_mul_hi_u32 s9, s2, s16
	s_add_u32 s10, s4, s6
	s_addc_u32 s13, s5, s7
	s_ashr_i32 s11, s2, 31
	s_add_i32 s9, s9, s8
	s_mul_i32 s11, s11, s16
	s_mul_i32 s8, s2, s16
	s_add_i32 s9, s9, s11
	s_mov_b32 s11, 0
	s_lshl_b64 s[8:9], s[8:9], 1
	s_delay_alu instid0(SALU_CYCLE_1)
	s_add_u32 s20, s10, s8
	s_addc_u32 s21, s13, s9
	s_and_b32 s10, s20, 31
	s_and_b32 s22, s12, 0xffff
	s_cmp_lg_u64 s[10:11], 0
	s_cselect_b32 s2, -1, 0
	s_and_b32 s10, s3, 15
	s_delay_alu instid0(SALU_CYCLE_1) | instskip(SKIP_1) | instid1(SALU_CYCLE_1)
	s_cmp_lg_u32 s10, 0
	s_cselect_b32 s10, -1, 0
	s_or_b32 s2, s10, s2
	s_delay_alu instid0(SALU_CYCLE_1)
	s_and_b32 vcc_lo, exec_lo, s2
	s_cbranch_vccz .LBB25_17
; %bb.4:
	s_sub_i32 s2, 0, s20
	v_mov_b32_e32 v4, 0
	s_bfe_u32 s2, s2, 0x40001
	s_mov_b32 s11, exec_lo
	s_min_i32 s10, s2, s3
	s_delay_alu instid0(SALU_CYCLE_1)
	v_cmpx_gt_i32_e64 s10, v0
	s_cbranch_execz .LBB25_8
; %bb.5:
	v_dual_mov_b32 v4, 0 :: v_dual_lshlrev_b32 v1, 1, v0
	s_add_u32 s2, s8, s6
	s_addc_u32 s12, s9, s7
	s_add_u32 s2, s4, s2
	s_addc_u32 s12, s5, s12
	v_add_co_u32 v1, s2, s2, v1
	s_delay_alu instid0(VALU_DEP_1)
	v_add_co_ci_u32_e64 v2, null, s12, 0, s2
	v_mov_b32_e32 v3, v0
	s_mov_b32 s12, 0
	s_lshl_b32 s13, s22, 1
.LBB25_6:                               ; =>This Inner Loop Header: Depth=1
	global_load_u16 v5, v[1:2], off
	v_add_co_u32 v1, vcc_lo, v1, s13
	v_add_co_ci_u32_e32 v2, vcc_lo, 0, v2, vcc_lo
	s_waitcnt vmcnt(0)
	v_lshlrev_b32_e32 v5, 16, v5
	s_delay_alu instid0(VALU_DEP_1) | instskip(NEXT) | instid1(VALU_DEP_1)
	v_dual_fmac_f32 v4, v5, v5 :: v_dual_add_nc_u32 v3, s22, v3
	v_cmp_le_i32_e64 s2, s10, v3
	s_delay_alu instid0(VALU_DEP_1) | instskip(NEXT) | instid1(SALU_CYCLE_1)
	s_or_b32 s12, s2, s12
	s_and_not1_b32 exec_lo, exec_lo, s12
	s_cbranch_execnz .LBB25_6
; %bb.7:
	s_or_b32 exec_lo, exec_lo, s12
.LBB25_8:
	s_delay_alu instid0(SALU_CYCLE_1)
	s_or_b32 exec_lo, exec_lo, s11
	s_sub_i32 s12, s3, s10
	s_ashr_i32 s11, s10, 31
	s_ashr_i32 s2, s12, 31
	s_mov_b32 s14, exec_lo
	s_lshr_b32 s2, s2, 28
	s_delay_alu instid0(SALU_CYCLE_1) | instskip(NEXT) | instid1(SALU_CYCLE_1)
	s_add_i32 s2, s12, s2
	s_ashr_i32 s13, s2, 4
	s_delay_alu instid0(SALU_CYCLE_1)
	v_cmpx_gt_i32_e64 s13, v0
	s_cbranch_execz .LBB25_12
; %bb.9:
	s_add_u32 s2, s8, s6
	s_addc_u32 s18, s9, s7
	s_lshl_b64 s[16:17], s[10:11], 1
	v_lshlrev_b32_e32 v1, 5, v0
	s_add_u32 s16, s4, s16
	s_addc_u32 s17, s5, s17
	s_add_u32 s2, s16, s2
	s_addc_u32 s16, s17, s18
	v_add_co_u32 v1, s2, s2, v1
	s_delay_alu instid0(VALU_DEP_1)
	v_add_co_ci_u32_e64 v2, null, s16, 0, s2
	v_mov_b32_e32 v3, v0
	s_mov_b32 s16, 0
	s_lshl_b32 s17, s22, 5
.LBB25_10:                              ; =>This Inner Loop Header: Depth=1
	s_clause 0x1
	global_load_b128 v[5:8], v[1:2], off
	global_load_b128 v[9:12], v[1:2], off offset:16
	v_add_co_u32 v1, vcc_lo, v1, s17
	v_add_co_ci_u32_e32 v2, vcc_lo, 0, v2, vcc_lo
	v_add_nc_u32_e32 v3, s22, v3
	s_delay_alu instid0(VALU_DEP_1) | instskip(NEXT) | instid1(VALU_DEP_1)
	v_cmp_le_i32_e64 s2, s13, v3
	s_or_b32 s16, s2, s16
	s_waitcnt vmcnt(1)
	v_lshlrev_b32_e32 v13, 16, v5
	v_and_b32_e32 v5, 0xffff0000, v5
	s_delay_alu instid0(VALU_DEP_2) | instskip(NEXT) | instid1(VALU_DEP_1)
	v_dual_fmac_f32 v4, v13, v13 :: v_dual_lshlrev_b32 v13, 16, v6
	v_dual_fmac_f32 v4, v5, v5 :: v_dual_and_b32 v5, 0xffff0000, v6
	v_lshlrev_b32_e32 v6, 16, v7
	s_delay_alu instid0(VALU_DEP_2) | instskip(NEXT) | instid1(VALU_DEP_1)
	v_fmac_f32_e32 v4, v13, v13
	v_dual_fmac_f32 v4, v5, v5 :: v_dual_and_b32 v5, 0xffff0000, v7
	s_delay_alu instid0(VALU_DEP_1) | instskip(SKIP_1) | instid1(VALU_DEP_2)
	v_fmac_f32_e32 v4, v6, v6
	v_lshlrev_b32_e32 v6, 16, v8
	v_dual_fmac_f32 v4, v5, v5 :: v_dual_and_b32 v5, 0xffff0000, v8
	s_delay_alu instid0(VALU_DEP_1) | instskip(SKIP_2) | instid1(VALU_DEP_2)
	v_fmac_f32_e32 v4, v6, v6
	s_waitcnt vmcnt(0)
	v_lshlrev_b32_e32 v6, 16, v9
	v_fmac_f32_e32 v4, v5, v5
	s_delay_alu instid0(VALU_DEP_1) | instskip(SKIP_1) | instid1(VALU_DEP_2)
	v_dual_fmac_f32 v4, v6, v6 :: v_dual_and_b32 v5, 0xffff0000, v9
	v_lshlrev_b32_e32 v6, 16, v10
	v_dual_fmac_f32 v4, v5, v5 :: v_dual_and_b32 v5, 0xffff0000, v10
	s_delay_alu instid0(VALU_DEP_1) | instskip(SKIP_1) | instid1(VALU_DEP_2)
	v_fmac_f32_e32 v4, v6, v6
	v_lshlrev_b32_e32 v6, 16, v11
	v_dual_fmac_f32 v4, v5, v5 :: v_dual_and_b32 v5, 0xffff0000, v11
	s_delay_alu instid0(VALU_DEP_1) | instskip(SKIP_1) | instid1(VALU_DEP_2)
	v_fmac_f32_e32 v4, v6, v6
	v_lshlrev_b32_e32 v6, 16, v12
	v_dual_fmac_f32 v4, v5, v5 :: v_dual_and_b32 v5, 0xffff0000, v12
	s_delay_alu instid0(VALU_DEP_1) | instskip(NEXT) | instid1(VALU_DEP_1)
	v_fmac_f32_e32 v4, v6, v6
	v_fmac_f32_e32 v4, v5, v5
	s_and_not1_b32 exec_lo, exec_lo, s16
	s_cbranch_execnz .LBB25_10
; %bb.11:
	s_or_b32 exec_lo, exec_lo, s16
.LBB25_12:
	s_delay_alu instid0(SALU_CYCLE_1) | instskip(SKIP_2) | instid1(VALU_DEP_1)
	s_or_b32 exec_lo, exec_lo, s14
	v_lshl_add_u32 v1, s13, 4, v0
	s_mov_b32 s13, exec_lo
	v_cmpx_gt_i32_e64 s12, v1
	s_cbranch_execz .LBB25_16
; %bb.13:
	v_ashrrev_i32_e32 v2, 31, v1
	s_add_u32 s2, s8, s6
	s_addc_u32 s14, s9, s7
	s_lshl_b64 s[10:11], s[10:11], 1
	s_delay_alu instid0(SALU_CYCLE_1)
	s_add_u32 s2, s2, s10
	v_lshlrev_b64 v[2:3], 1, v[1:2]
	s_addc_u32 s10, s14, s11
	s_add_u32 s2, s4, s2
	s_addc_u32 s10, s5, s10
	s_lshl_b32 s11, s22, 1
	s_delay_alu instid0(VALU_DEP_1)
	v_add_co_u32 v2, vcc_lo, s2, v2
	v_add_co_ci_u32_e32 v3, vcc_lo, s10, v3, vcc_lo
	s_mov_b32 s10, 0
.LBB25_14:                              ; =>This Inner Loop Header: Depth=1
	global_load_u16 v5, v[2:3], off
	v_add_nc_u32_e32 v1, s22, v1
	v_add_co_u32 v2, vcc_lo, v2, s11
	v_add_co_ci_u32_e32 v3, vcc_lo, 0, v3, vcc_lo
	s_delay_alu instid0(VALU_DEP_3) | instskip(NEXT) | instid1(VALU_DEP_1)
	v_cmp_le_i32_e64 s2, s12, v1
	s_or_b32 s10, s2, s10
	s_waitcnt vmcnt(0)
	v_lshlrev_b32_e32 v5, 16, v5
	s_delay_alu instid0(VALU_DEP_1)
	v_fmac_f32_e32 v4, v5, v5
	s_and_not1_b32 exec_lo, exec_lo, s10
	s_cbranch_execnz .LBB25_14
; %bb.15:
	s_or_b32 exec_lo, exec_lo, s10
.LBB25_16:
	s_delay_alu instid0(SALU_CYCLE_1)
	s_or_b32 exec_lo, exec_lo, s13
	s_branch .LBB25_23
.LBB25_17:
                                        ; implicit-def: $vgpr4
	s_cbranch_execz .LBB25_23
; %bb.18:
	v_mov_b32_e32 v4, 0
	s_ashr_i32 s11, s3, 4
	s_mov_b32 s10, exec_lo
	v_cmpx_gt_i32_e64 s11, v0
	s_cbranch_execz .LBB25_22
; %bb.19:
	v_dual_mov_b32 v4, 0 :: v_dual_lshlrev_b32 v1, 5, v0
	s_add_u32 s2, s8, s6
	s_addc_u32 s6, s9, s7
	s_add_u32 s2, s4, s2
	s_addc_u32 s4, s5, s6
	v_add_co_u32 v1, s2, s2, v1
	s_delay_alu instid0(VALU_DEP_1)
	v_add_co_ci_u32_e64 v2, null, s4, 0, s2
	v_mov_b32_e32 v3, v0
	s_mov_b32 s4, 0
	s_lshl_b32 s5, s22, 5
.LBB25_20:                              ; =>This Inner Loop Header: Depth=1
	s_clause 0x1
	global_load_b128 v[5:8], v[1:2], off
	global_load_b128 v[9:12], v[1:2], off offset:16
	v_add_co_u32 v1, vcc_lo, v1, s5
	v_add_co_ci_u32_e32 v2, vcc_lo, 0, v2, vcc_lo
	v_add_nc_u32_e32 v3, s22, v3
	s_delay_alu instid0(VALU_DEP_1) | instskip(NEXT) | instid1(VALU_DEP_1)
	v_cmp_le_i32_e64 s2, s11, v3
	s_or_b32 s4, s2, s4
	s_waitcnt vmcnt(1)
	v_lshlrev_b32_e32 v13, 16, v5
	v_and_b32_e32 v5, 0xffff0000, v5
	s_delay_alu instid0(VALU_DEP_2) | instskip(NEXT) | instid1(VALU_DEP_1)
	v_dual_fmac_f32 v4, v13, v13 :: v_dual_lshlrev_b32 v13, 16, v6
	v_dual_fmac_f32 v4, v5, v5 :: v_dual_and_b32 v5, 0xffff0000, v6
	v_lshlrev_b32_e32 v6, 16, v7
	s_delay_alu instid0(VALU_DEP_2) | instskip(NEXT) | instid1(VALU_DEP_1)
	v_fmac_f32_e32 v4, v13, v13
	v_dual_fmac_f32 v4, v5, v5 :: v_dual_and_b32 v5, 0xffff0000, v7
	s_delay_alu instid0(VALU_DEP_1) | instskip(SKIP_1) | instid1(VALU_DEP_2)
	v_fmac_f32_e32 v4, v6, v6
	v_lshlrev_b32_e32 v6, 16, v8
	v_dual_fmac_f32 v4, v5, v5 :: v_dual_and_b32 v5, 0xffff0000, v8
	s_delay_alu instid0(VALU_DEP_1) | instskip(SKIP_2) | instid1(VALU_DEP_2)
	v_fmac_f32_e32 v4, v6, v6
	s_waitcnt vmcnt(0)
	v_lshlrev_b32_e32 v6, 16, v9
	v_fmac_f32_e32 v4, v5, v5
	s_delay_alu instid0(VALU_DEP_1) | instskip(SKIP_1) | instid1(VALU_DEP_2)
	v_dual_fmac_f32 v4, v6, v6 :: v_dual_and_b32 v5, 0xffff0000, v9
	v_lshlrev_b32_e32 v6, 16, v10
	v_dual_fmac_f32 v4, v5, v5 :: v_dual_and_b32 v5, 0xffff0000, v10
	s_delay_alu instid0(VALU_DEP_1) | instskip(SKIP_1) | instid1(VALU_DEP_2)
	v_fmac_f32_e32 v4, v6, v6
	v_lshlrev_b32_e32 v6, 16, v11
	v_dual_fmac_f32 v4, v5, v5 :: v_dual_and_b32 v5, 0xffff0000, v11
	s_delay_alu instid0(VALU_DEP_1) | instskip(SKIP_1) | instid1(VALU_DEP_2)
	v_fmac_f32_e32 v4, v6, v6
	v_lshlrev_b32_e32 v6, 16, v12
	v_dual_fmac_f32 v4, v5, v5 :: v_dual_and_b32 v5, 0xffff0000, v12
	s_delay_alu instid0(VALU_DEP_1) | instskip(NEXT) | instid1(VALU_DEP_1)
	v_fmac_f32_e32 v4, v6, v6
	v_fmac_f32_e32 v4, v5, v5
	s_and_not1_b32 exec_lo, exec_lo, s4
	s_cbranch_execnz .LBB25_20
; %bb.21:
	s_or_b32 exec_lo, exec_lo, s4
.LBB25_22:
	s_delay_alu instid0(SALU_CYCLE_1)
	s_or_b32 exec_lo, exec_lo, s10
.LBB25_23:
	v_mbcnt_lo_u32_b32 v1, -1, 0
	v_and_b32_e32 v3, 0x3e0, v0
	s_mov_b32 s2, exec_lo
	s_delay_alu instid0(VALU_DEP_2) | instskip(NEXT) | instid1(VALU_DEP_2)
	v_cmp_ne_u32_e32 vcc_lo, 31, v1
	v_sub_nc_u32_e64 v12, s22, v3 clamp
	v_add_nc_u32_e32 v3, 1, v1
	v_add_co_ci_u32_e32 v2, vcc_lo, 0, v1, vcc_lo
	v_cmp_gt_u32_e32 vcc_lo, 30, v1
	s_delay_alu instid0(VALU_DEP_2)
	v_lshlrev_b32_e32 v2, 2, v2
	v_cndmask_b32_e64 v6, 0, 1, vcc_lo
	v_cmp_lt_u32_e32 vcc_lo, v3, v12
	ds_bpermute_b32 v5, v2, v4
	s_waitcnt lgkmcnt(0)
	v_dual_add_f32 v7, v4, v5 :: v_dual_lshlrev_b32 v6, 1, v6
	s_delay_alu instid0(VALU_DEP_1) | instskip(NEXT) | instid1(VALU_DEP_2)
	v_cndmask_b32_e32 v7, v4, v7, vcc_lo
	v_add_lshl_u32 v5, v6, v1, 2
	v_cmp_gt_u32_e32 vcc_lo, 28, v1
	ds_bpermute_b32 v6, v5, v7
	v_cndmask_b32_e64 v4, 0, 1, vcc_lo
	s_delay_alu instid0(VALU_DEP_1) | instskip(SKIP_1) | instid1(VALU_DEP_1)
	v_lshlrev_b32_e32 v8, 2, v4
	v_add_nc_u32_e32 v4, 2, v1
	v_cmp_lt_u32_e32 vcc_lo, v4, v12
	s_waitcnt lgkmcnt(0)
	v_add_f32_e32 v9, v7, v6
	v_add_lshl_u32 v6, v8, v1, 2
	s_delay_alu instid0(VALU_DEP_2) | instskip(SKIP_2) | instid1(VALU_DEP_1)
	v_cndmask_b32_e32 v9, v7, v9, vcc_lo
	v_cmp_gt_u32_e32 vcc_lo, 24, v1
	v_cndmask_b32_e64 v7, 0, 1, vcc_lo
	v_lshlrev_b32_e32 v10, 3, v7
	ds_bpermute_b32 v8, v6, v9
	v_add_nc_u32_e32 v7, 4, v1
	s_delay_alu instid0(VALU_DEP_1) | instskip(SKIP_3) | instid1(VALU_DEP_2)
	v_cmp_lt_u32_e32 vcc_lo, v7, v12
	s_waitcnt lgkmcnt(0)
	v_add_f32_e32 v11, v9, v8
	v_add_lshl_u32 v8, v10, v1, 2
	v_cndmask_b32_e32 v11, v9, v11, vcc_lo
	v_cmp_gt_u32_e32 vcc_lo, 16, v1
	ds_bpermute_b32 v10, v8, v11
	v_cndmask_b32_e64 v9, 0, 1, vcc_lo
	s_delay_alu instid0(VALU_DEP_1) | instskip(SKIP_1) | instid1(VALU_DEP_1)
	v_lshlrev_b32_e32 v13, 4, v9
	v_add_nc_u32_e32 v9, 8, v1
	v_cmp_lt_u32_e32 vcc_lo, v9, v12
	s_waitcnt lgkmcnt(0)
	v_add_f32_e32 v14, v11, v10
	v_add_lshl_u32 v10, v13, v1, 2
	s_delay_alu instid0(VALU_DEP_2)
	v_cndmask_b32_e32 v13, v11, v14, vcc_lo
	v_add_nc_u32_e32 v11, 16, v1
	ds_bpermute_b32 v14, v10, v13
	v_cmp_lt_u32_e32 vcc_lo, v11, v12
	s_waitcnt lgkmcnt(0)
	v_add_f32_e32 v14, v13, v14
	s_delay_alu instid0(VALU_DEP_1)
	v_cndmask_b32_e32 v12, v13, v14, vcc_lo
	v_cmpx_eq_u32_e32 0, v1
	s_cbranch_execz .LBB25_25
; %bb.24:
	v_lshrrev_b32_e32 v13, 3, v0
	s_delay_alu instid0(VALU_DEP_1)
	v_and_b32_e32 v13, 0x7c, v13
	ds_store_b32 v13, v12
.LBB25_25:
	s_or_b32 exec_lo, exec_lo, s2
	s_delay_alu instid0(SALU_CYCLE_1)
	s_mov_b32 s2, exec_lo
	s_waitcnt lgkmcnt(0)
	s_barrier
	buffer_gl0_inv
	v_cmpx_gt_u32_e32 32, v0
	s_cbranch_execz .LBB25_27
; %bb.26:
	v_lshlrev_b32_e32 v1, 2, v1
	s_add_i32 s4, s22, 31
	s_delay_alu instid0(SALU_CYCLE_1) | instskip(NEXT) | instid1(SALU_CYCLE_1)
	s_lshr_b32 s4, s4, 5
	v_cmp_gt_u32_e32 vcc_lo, s4, v3
	ds_load_b32 v1, v1
	s_waitcnt lgkmcnt(0)
	ds_bpermute_b32 v2, v2, v1
	s_waitcnt lgkmcnt(0)
	v_add_f32_e32 v2, v1, v2
	s_delay_alu instid0(VALU_DEP_1) | instskip(SKIP_4) | instid1(VALU_DEP_1)
	v_cndmask_b32_e32 v1, v1, v2, vcc_lo
	v_cmp_gt_u32_e32 vcc_lo, s4, v4
	ds_bpermute_b32 v2, v5, v1
	s_waitcnt lgkmcnt(0)
	v_add_f32_e32 v2, v1, v2
	v_cndmask_b32_e32 v1, v1, v2, vcc_lo
	v_cmp_gt_u32_e32 vcc_lo, s4, v7
	ds_bpermute_b32 v2, v6, v1
	s_waitcnt lgkmcnt(0)
	v_add_f32_e32 v2, v1, v2
	s_delay_alu instid0(VALU_DEP_1) | instskip(SKIP_4) | instid1(VALU_DEP_1)
	v_cndmask_b32_e32 v1, v1, v2, vcc_lo
	v_cmp_gt_u32_e32 vcc_lo, s4, v9
	ds_bpermute_b32 v2, v8, v1
	s_waitcnt lgkmcnt(0)
	v_add_f32_e32 v2, v1, v2
	v_cndmask_b32_e32 v1, v1, v2, vcc_lo
	v_cmp_gt_u32_e32 vcc_lo, s4, v11
	ds_bpermute_b32 v2, v10, v1
	s_waitcnt lgkmcnt(0)
	v_add_f32_e32 v2, v1, v2
	s_delay_alu instid0(VALU_DEP_1)
	v_cndmask_b32_e32 v12, v1, v2, vcc_lo
.LBB25_27:
	s_or_b32 exec_lo, exec_lo, s2
	s_delay_alu instid0(SALU_CYCLE_1)
	s_mov_b32 s2, exec_lo
	v_cmpx_eq_u32_e32 0, v0
	s_cbranch_execz .LBB25_29
; %bb.28:
	v_cvt_f32_i32_e32 v1, s3
	s_load_b32 s4, s[0:1], 0x40
	s_delay_alu instid0(VALU_DEP_1) | instskip(SKIP_1) | instid1(VALU_DEP_2)
	v_div_scale_f32 v2, null, v1, v1, v12
	v_div_scale_f32 v5, vcc_lo, v12, v1, v12
	v_rcp_f32_e32 v3, v2
	s_waitcnt_depctr 0xfff
	v_fma_f32 v4, -v2, v3, 1.0
	s_delay_alu instid0(VALU_DEP_1) | instskip(NEXT) | instid1(VALU_DEP_1)
	v_fmac_f32_e32 v3, v4, v3
	v_mul_f32_e32 v4, v5, v3
	s_delay_alu instid0(VALU_DEP_1) | instskip(NEXT) | instid1(VALU_DEP_1)
	v_fma_f32 v6, -v2, v4, v5
	v_fmac_f32_e32 v4, v6, v3
	s_delay_alu instid0(VALU_DEP_1) | instskip(NEXT) | instid1(VALU_DEP_1)
	v_fma_f32 v2, -v2, v4, v5
	v_div_fmas_f32 v2, v2, v3, v4
	s_delay_alu instid0(VALU_DEP_1) | instskip(SKIP_1) | instid1(VALU_DEP_1)
	v_div_fixup_f32 v1, v2, v1, v12
	s_waitcnt lgkmcnt(0)
	v_add_f32_e32 v1, s4, v1
	s_delay_alu instid0(VALU_DEP_1) | instskip(SKIP_1) | instid1(VALU_DEP_2)
	v_mul_f32_e32 v2, 0x4b800000, v1
	v_cmp_gt_f32_e32 vcc_lo, 0x800000, v1
	v_cndmask_b32_e32 v1, v1, v2, vcc_lo
	s_delay_alu instid0(VALU_DEP_1) | instskip(SKIP_2) | instid1(VALU_DEP_1)
	v_rsq_f32_e32 v1, v1
	s_waitcnt_depctr 0xfff
	v_mul_f32_e32 v2, 0x45800000, v1
	v_dual_cndmask_b32 v1, v1, v2 :: v_dual_mov_b32 v2, 0
	ds_store_b32 v2, v1 offset:128
.LBB25_29:
	s_or_b32 exec_lo, exec_lo, s2
	s_ashr_i32 s2, s3, 31
	s_waitcnt lgkmcnt(0)
	s_lshr_b32 s2, s2, 28
	s_barrier
	s_add_i32 s2, s3, s2
	buffer_gl0_inv
	s_ashr_i32 s23, s2, 4
	s_mov_b32 s2, exec_lo
	v_cmpx_gt_i32_e64 s23, v0
	s_cbranch_execz .LBB25_40
; %bb.30:
	v_cvt_f32_u32_e32 v1, s22
	s_clause 0x1
	s_load_b64 s[4:5], s[0:1], 0x0
	s_load_b64 s[16:17], s[0:1], 0x38
	s_mul_i32 s18, s15, s3
	s_mov_b32 s19, 0
	v_rcp_iflag_f32_e32 v1, v1
	s_lshl_b64 s[0:1], s[18:19], 1
	v_add_nc_u32_e32 v3, s22, v0
	s_delay_alu instid0(VALU_DEP_1) | instskip(SKIP_3) | instid1(VALU_DEP_1)
	v_cmp_gt_i32_e32 vcc_lo, s23, v3
	v_max_i32_e32 v4, s23, v3
	s_waitcnt_depctr 0xfff
	v_mul_f32_e32 v1, 0x4f7ffffe, v1
	v_cvt_u32_f32_e32 v1, v1
	s_waitcnt lgkmcnt(0)
	s_add_u32 s18, s4, s0
	s_addc_u32 s24, s5, s1
	s_sub_i32 s0, 0, s22
	s_cmp_lg_u32 s22, 1
	v_mul_lo_u32 v2, s0, v1
	v_add_co_ci_u32_e64 v3, s0, s22, v0, vcc_lo
	s_delay_alu instid0(VALU_DEP_1) | instskip(NEXT) | instid1(VALU_DEP_3)
	v_sub_nc_u32_e32 v3, v4, v3
	v_mul_hi_u32 v2, v1, v2
	s_delay_alu instid0(VALU_DEP_1) | instskip(NEXT) | instid1(VALU_DEP_1)
	v_add_nc_u32_e32 v1, v1, v2
	v_mul_hi_u32 v1, v3, v1
	s_delay_alu instid0(VALU_DEP_1) | instskip(NEXT) | instid1(VALU_DEP_1)
	v_mul_lo_u32 v2, v1, s22
	v_sub_nc_u32_e32 v2, v3, v2
	v_add_nc_u32_e32 v3, 1, v1
	s_delay_alu instid0(VALU_DEP_2) | instskip(SKIP_1) | instid1(VALU_DEP_1)
	v_subrev_nc_u32_e32 v4, s22, v2
	v_cmp_le_u32_e64 s0, s22, v2
	v_cndmask_b32_e64 v1, v1, v3, s0
	s_delay_alu instid0(VALU_DEP_3) | instskip(NEXT) | instid1(VALU_DEP_2)
	v_cndmask_b32_e64 v2, v2, v4, s0
	v_dual_mov_b32 v3, 0 :: v_dual_add_nc_u32 v4, 1, v1
	s_delay_alu instid0(VALU_DEP_2) | instskip(SKIP_3) | instid1(VALU_DEP_1)
	v_cmp_le_u32_e64 s0, s22, v2
	ds_load_b32 v9, v3 offset:128
	v_cndmask_b32_e64 v1, v1, v4, s0
	s_cselect_b32 s0, -1, 0
	v_add_co_ci_u32_e32 v10, vcc_lo, 1, v1, vcc_lo
	s_delay_alu instid0(VALU_DEP_1) | instskip(SKIP_1) | instid1(SALU_CYCLE_1)
	v_cmp_gt_u32_e32 vcc_lo, 2, v10
	s_or_b32 s0, vcc_lo, s0
	s_and_saveexec_b32 s1, s0
	s_delay_alu instid0(SALU_CYCLE_1)
	s_xor_b32 s0, exec_lo, s1
	s_cbranch_execnz .LBB25_34
; %bb.31:
	s_and_not1_saveexec_b32 s25, s0
	s_cbranch_execnz .LBB25_35
.LBB25_32:
	s_or_b32 exec_lo, exec_lo, s25
	s_delay_alu instid0(SALU_CYCLE_1)
	s_and_b32 exec_lo, exec_lo, s19
	s_cbranch_execnz .LBB25_38
	s_branch .LBB25_40
.LBB25_33:
                                        ; implicit-def: $sgpr10_sgpr11
	s_branch .LBB25_2
.LBB25_34:
	s_mov_b32 s19, exec_lo
                                        ; implicit-def: $vgpr10
	s_and_not1_saveexec_b32 s25, s0
	s_cbranch_execz .LBB25_32
.LBB25_35:
	v_dual_mov_b32 v2, 0 :: v_dual_and_b32 v11, -2, v10
	v_add_nc_u32_e32 v1, 1, v0
	s_mov_b32 s26, 0
	s_delay_alu instid0(VALU_DEP_2) | instskip(NEXT) | instid1(VALU_DEP_2)
	v_mov_b32_e32 v12, v11
	v_dual_mov_b32 v4, v1 :: v_dual_mov_b32 v3, v0
.LBB25_36:                              ; =>This Inner Loop Header: Depth=1
	s_delay_alu instid0(VALU_DEP_1) | instskip(NEXT) | instid1(VALU_DEP_1)
	v_dual_mov_b32 v1, v3 :: v_dual_add_nc_u32 v12, -2, v12
	v_lshlrev_b64 v[5:6], 5, v[1:2]
	s_delay_alu instid0(VALU_DEP_3) | instskip(NEXT) | instid1(VALU_DEP_3)
	v_dual_mov_b32 v1, v4 :: v_dual_add_nc_u32 v4, 2, v4
	v_cmp_eq_u32_e32 vcc_lo, 0, v12
	s_delay_alu instid0(VALU_DEP_2) | instskip(NEXT) | instid1(VALU_DEP_4)
	v_lshlrev_b64 v[7:8], 5, v[1:2]
	v_add_co_u32 v21, s0, s20, v5
	s_delay_alu instid0(VALU_DEP_1) | instskip(SKIP_1) | instid1(VALU_DEP_1)
	v_add_co_ci_u32_e64 v22, s0, s21, v6, s0
	v_add_co_u32 v25, s0, s16, v5
	v_add_co_ci_u32_e64 v26, s0, s17, v6, s0
	v_add_co_u32 v5, s0, s18, v5
	s_delay_alu instid0(VALU_DEP_1) | instskip(SKIP_1) | instid1(VALU_DEP_1)
	v_add_co_ci_u32_e64 v6, s0, s24, v6, s0
	v_add_co_u32 v37, s0, s20, v7
	v_add_co_ci_u32_e64 v38, s0, s21, v8, s0
	v_add_co_u32 v41, s0, s16, v7
	s_delay_alu instid0(VALU_DEP_1)
	v_add_co_ci_u32_e64 v42, s0, s17, v8, s0
	global_load_b128 v[13:16], v[21:22], off
	global_load_b128 v[17:20], v[25:26], off
	global_load_b128 v[21:24], v[21:22], off offset:16
	global_load_b128 v[25:28], v[25:26], off offset:16
	global_load_b128 v[29:32], v[37:38], off
	global_load_b128 v[33:36], v[41:42], off
	global_load_b128 v[37:40], v[37:38], off offset:16
	global_load_b128 v[41:44], v[41:42], off offset:16
	v_add_co_u32 v7, s0, s18, v7
	s_delay_alu instid0(VALU_DEP_1)
	v_add_co_ci_u32_e64 v8, s0, s24, v8, s0
	s_or_b32 s26, vcc_lo, s26
	s_waitcnt vmcnt(7)
	v_lshlrev_b32_e32 v46, 16, v14
	v_and_b32_e32 v14, 0xffff0000, v14
	s_waitcnt vmcnt(5)
	v_lshlrev_b32_e32 v58, 16, v24
	v_lshlrev_b32_e32 v51, 16, v20
	s_waitcnt vmcnt(1)
	v_lshlrev_b32_e32 v74, 16, v40
	v_lshlrev_b32_e32 v65, 16, v35
	s_waitcnt vmcnt(0)
	v_lshlrev_b32_e32 v73, 16, v43
	v_and_b32_e32 v40, 0xffff0000, v40
	v_and_b32_e32 v24, 0xffff0000, v24
	s_waitcnt lgkmcnt(0)
	v_dual_mul_f32 v74, v9, v74 :: v_dual_and_b32 v43, 0xffff0000, v43
	v_lshlrev_b32_e32 v70, 16, v38
	v_lshlrev_b32_e32 v59, 16, v28
	v_dual_mul_f32 v24, v9, v24 :: v_dual_lshlrev_b32 v53, 16, v25
	v_dual_mul_f32 v40, v9, v40 :: v_dual_lshlrev_b32 v63, 16, v34
	s_delay_alu instid0(VALU_DEP_4)
	v_mul_f32_e32 v70, v9, v70
	v_lshlrev_b32_e32 v62, 16, v30
	v_and_b32_e32 v25, 0xffff0000, v25
	v_lshlrev_b32_e32 v66, 16, v32
	v_lshlrev_b32_e32 v1, 16, v13
	;; [unrolled: 1-line block ×3, first 2 shown]
	v_mul_f32_e32 v62, v9, v62
	v_lshlrev_b32_e32 v56, 16, v23
	v_dual_mul_f32 v66, v9, v66 :: v_dual_and_b32 v23, 0xffff0000, v23
	v_lshlrev_b32_e32 v50, 16, v16
	v_lshlrev_b32_e32 v68, 16, v37
	;; [unrolled: 1-line block ×3, first 2 shown]
	s_delay_alu instid0(VALU_DEP_4) | instskip(NEXT) | instid1(VALU_DEP_4)
	v_mul_f32_e32 v23, v9, v23
	v_dual_mul_f32 v50, v9, v50 :: v_dual_and_b32 v13, 0xffff0000, v13
	v_and_b32_e32 v32, 0xffff0000, v32
	v_mul_f32_e32 v68, v9, v68
	s_delay_alu instid0(VALU_DEP_3) | instskip(SKIP_3) | instid1(VALU_DEP_4)
	v_dual_mul_f32 v13, v9, v13 :: v_dual_and_b32 v30, 0xffff0000, v30
	v_mul_f32_e32 v14, v9, v14
	v_mul_f32_e32 v1, v9, v1
	v_dual_mul_f32 v46, v9, v46 :: v_dual_add_nc_u32 v3, 2, v3
	v_dual_mul_f32 v30, v9, v30 :: v_dual_lshlrev_b32 v57, 16, v27
	v_dual_mul_f32 v32, v9, v32 :: v_dual_and_b32 v27, 0xffff0000, v27
	v_lshlrev_b32_e32 v60, 16, v29
	v_lshlrev_b32_e32 v69, 16, v41
	;; [unrolled: 1-line block ×3, first 2 shown]
	v_and_b32_e32 v38, 0xffff0000, v38
	v_and_b32_e32 v29, 0xffff0000, v29
	v_bfe_u32 v76, v1, 16, 1
	v_bfe_u32 v77, v13, 16, 1
	;; [unrolled: 1-line block ×3, first 2 shown]
	v_mul_f32_e32 v38, v9, v38
	v_dual_mul_f32 v29, v9, v29 :: v_dual_and_b32 v16, 0xffff0000, v16
	s_delay_alu instid0(VALU_DEP_4)
	v_add3_u32 v77, v13, v77, 0x7fff
	v_add3_u32 v76, v1, v76, 0x7fff
	v_add3_u32 v78, v46, v78, 0x7fff
	v_cmp_o_f32_e64 s1, v46, v46
	v_bfe_u32 v46, v30, 16, 1
	v_bfe_u32 v91, v24, 16, 1
	;; [unrolled: 1-line block ×3, first 2 shown]
	v_and_b32_e32 v77, 0xffff0000, v77
	v_cmp_o_f32_e64 s0, v13, v13
	v_bfe_u32 v13, v62, 16, 1
	v_and_b32_e32 v78, 0xffff0000, v78
	v_and_b32_e32 v76, 0xffff0000, v76
	v_add3_u32 v46, v30, v46, 0x7fff
	v_cmp_o_f32_e64 s15, v1, v1
	v_add3_u32 v91, v24, v91, 0x7fff
	v_add3_u32 v93, v29, v93, 0x7fff
	;; [unrolled: 1-line block ×3, first 2 shown]
	v_cmp_o_f32_e64 s14, v24, v24
	v_cndmask_b32_e64 v24, 0x7fc00000, v76, s15
	v_cmp_o_f32_e64 s15, v29, v29
	v_cndmask_b32_e64 v29, 0x7fc00000, v77, s0
	;; [unrolled: 2-line block ×3, first 2 shown]
	v_and_b32_e32 v46, 0xffff0000, v46
	v_cmp_o_f32_e64 s1, v30, v30
	v_lshlrev_b32_e32 v72, 16, v39
	v_mul_f32_e32 v60, v9, v60
	v_and_b32_e32 v76, 0xffff0000, v93
	v_and_b32_e32 v33, 0xffff0000, v33
	v_cndmask_b32_e64 v46, 0x7fc00000, v46, s1
	v_dual_mul_f32 v72, v9, v72 :: v_dual_and_b32 v39, 0xffff0000, v39
	v_lshlrev_b32_e32 v52, 16, v21
	v_and_b32_e32 v21, 0xffff0000, v21
	v_lshlrev_b32_e32 v48, 16, v15
	v_and_b32_e32 v41, 0xffff0000, v41
	v_lshlrev_b32_e32 v64, 16, v31
	v_lshlrev_b32_e32 v55, 16, v26
	v_mul_f32_e32 v21, v9, v21
	v_dual_mul_f32 v48, v9, v48 :: v_dual_lshlrev_b32 v45, 16, v17
	v_dual_mul_f32 v16, v9, v16 :: v_dual_and_b32 v17, 0xffff0000, v17
	s_delay_alu instid0(VALU_DEP_2) | instskip(SKIP_1) | instid1(VALU_DEP_3)
	v_dual_mul_f32 v24, v24, v45 :: v_dual_and_b32 v31, 0xffff0000, v31
	v_cndmask_b32_e64 v45, 0x7fc00000, v76, s15
	v_dual_mul_f32 v17, v29, v17 :: v_dual_and_b32 v34, 0xffff0000, v34
	v_bfe_u32 v79, v14, 16, 1
	v_bfe_u32 v80, v48, 16, 1
	s_delay_alu instid0(VALU_DEP_3)
	v_dual_mul_f32 v33, v45, v33 :: v_dual_mul_f32 v34, v46, v34
	v_mul_f32_e32 v39, v9, v39
	v_dual_mul_f32 v52, v9, v52 :: v_dual_lshlrev_b32 v47, 16, v18
	v_and_b32_e32 v26, 0xffff0000, v26
	v_and_b32_e32 v37, 0xffff0000, v37
	v_lshlrev_b32_e32 v54, 16, v22
	v_and_b32_e32 v22, 0xffff0000, v22
	v_and_b32_e32 v15, 0xffff0000, v15
	v_bfe_u32 v82, v50, 16, 1
	v_bfe_u32 v83, v16, 16, 1
	;; [unrolled: 1-line block ×3, first 2 shown]
	v_mul_f32_e32 v22, v9, v22
	v_dual_mul_f32 v15, v9, v15 :: v_dual_and_b32 v18, 0xffff0000, v18
	v_bfe_u32 v85, v21, 16, 1
	v_dual_mul_f32 v31, v9, v31 :: v_dual_and_b32 v20, 0xffff0000, v20
	v_mul_f32_e32 v64, v9, v64
	s_delay_alu instid0(VALU_DEP_4)
	v_bfe_u32 v81, v15, 16, 1
	v_mul_f32_e32 v37, v9, v37
	v_add3_u32 v79, v14, v79, 0x7fff
	v_add3_u32 v80, v48, v80, 0x7fff
	;; [unrolled: 1-line block ×7, first 2 shown]
	v_and_b32_e32 v42, 0xffff0000, v42
	v_and_b32_e32 v44, 0xffff0000, v44
	;; [unrolled: 1-line block ×3, first 2 shown]
	v_cmp_o_f32_e64 s2, v14, v14
	v_bfe_u32 v14, v64, 16, 1
	v_and_b32_e32 v80, 0xffff0000, v80
	v_cmp_o_f32_e64 s3, v48, v48
	v_bfe_u32 v48, v31, 16, 1
	v_and_b32_e32 v81, 0xffff0000, v81
	;; [unrolled: 3-line block ×6, first 2 shown]
	v_cmp_o_f32_e64 s8, v21, v21
	v_add3_u32 v14, v64, v14, 0x7fff
	v_add3_u32 v48, v31, v48, 0x7fff
	;; [unrolled: 1-line block ×6, first 2 shown]
	v_cndmask_b32_e64 v30, 0x7fc00000, v79, s2
	v_cmp_o_f32_e64 s2, v64, v64
	v_cndmask_b32_e64 v64, 0x7fc00000, v80, s3
	v_cmp_o_f32_e64 s3, v31, v31
	;; [unrolled: 2-line block ×6, first 2 shown]
	v_cndmask_b32_e64 v37, 0x7fc00000, v85, s8
	v_dual_mul_f32 v54, v9, v54 :: v_dual_lshlrev_b32 v49, 16, v19
	v_bfe_u32 v87, v22, 16, 1
	v_bfe_u32 v89, v23, 16, 1
	s_delay_alu instid0(VALU_DEP_4) | instskip(SKIP_4) | instid1(VALU_DEP_4)
	v_mul_f32_e32 v25, v37, v25
	v_dual_mul_f32 v56, v9, v56 :: v_dual_and_b32 v19, 0xffff0000, v19
	v_bfe_u32 v86, v54, 16, 1
	v_bfe_u32 v92, v60, 16, 1
	v_add3_u32 v87, v22, v87, 0x7fff
	v_dual_mul_f32 v19, v31, v19 :: v_dual_mul_f32 v58, v9, v58
	v_bfe_u32 v88, v56, 16, 1
	v_add3_u32 v86, v54, v86, 0x7fff
	v_cmp_o_f32_e64 s9, v54, v54
	v_bfe_u32 v54, v38, 16, 1
	v_bfe_u32 v90, v58, 16, 1
	v_add3_u32 v88, v56, v88, 0x7fff
	v_add3_u32 v89, v23, v89, 0x7fff
	v_cmp_o_f32_e64 s13, v58, v58
	v_bfe_u32 v21, v70, 16, 1
	v_add3_u32 v90, v58, v90, 0x7fff
	v_bfe_u32 v58, v40, 16, 1
	v_cmp_o_f32_e64 s10, v22, v22
	v_bfe_u32 v22, v72, 16, 1
	v_cmp_o_f32_e64 s11, v56, v56
	;; [unrolled: 2-line block ×3, first 2 shown]
	v_bfe_u32 v23, v74, 16, 1
	v_and_b32_e32 v86, 0xffff0000, v86
	v_and_b32_e32 v87, 0xffff0000, v87
	;; [unrolled: 1-line block ×5, first 2 shown]
	v_add3_u32 v92, v60, v92, 0x7fff
	v_add3_u32 v54, v38, v54, 0x7fff
	;; [unrolled: 1-line block ×3, first 2 shown]
	v_and_b32_e32 v91, 0xffff0000, v91
	v_add3_u32 v21, v70, v21, 0x7fff
	v_add3_u32 v22, v72, v22, 0x7fff
	;; [unrolled: 1-line block ×4, first 2 shown]
	v_and_b32_e32 v1, 0xffff0000, v92
	v_and_b32_e32 v13, 0xffff0000, v13
	;; [unrolled: 1-line block ×7, first 2 shown]
	v_cmp_o_f32_e64 s8, v70, v70
	v_cndmask_b32_e64 v70, 0x7fc00000, v86, s9
	v_and_b32_e32 v28, 0xffff0000, v28
	v_and_b32_e32 v54, 0xffff0000, v54
	v_cmp_o_f32_e64 s9, v38, v38
	v_cndmask_b32_e64 v38, 0x7fc00000, v87, s10
	v_mul_f32_e32 v37, v70, v55
	v_cmp_o_f32_e64 s10, v72, v72
	v_cndmask_b32_e64 v72, 0x7fc00000, v88, s11
	v_cmp_o_f32_e64 s11, v39, v39
	v_cndmask_b32_e64 v39, 0x7fc00000, v89, s12
	;; [unrolled: 2-line block ×3, first 2 shown]
	v_and_b32_e32 v58, 0xffff0000, v58
	v_cmp_o_f32_e64 s13, v40, v40
	v_cndmask_b32_e64 v40, 0x7fc00000, v91, s14
	v_cmp_o_f32_e64 s14, v60, v60
	v_and_b32_e32 v16, 0xffff0000, v16
	v_and_b32_e32 v21, 0xffff0000, v21
	;; [unrolled: 1-line block ×5, first 2 shown]
	v_dual_mul_f32 v18, v30, v18 :: v_dual_and_b32 v35, 0xffff0000, v35
	v_dual_mul_f32 v30, v64, v49 :: v_dual_lshlrev_b32 v67, 16, v36
	v_cndmask_b32_e64 v1, 0x7fc00000, v1, s14
	v_cndmask_b32_e64 v13, 0x7fc00000, v13, s0
	v_mul_f32_e32 v29, v62, v47
	v_cndmask_b32_e64 v14, 0x7fc00000, v14, s2
	v_cndmask_b32_e64 v47, 0x7fc00000, v48, s3
	;; [unrolled: 1-line block ×3, first 2 shown]
	v_dual_mul_f32 v31, v66, v51 :: v_dual_and_b32 v36, 0xffff0000, v36
	v_cndmask_b32_e64 v48, 0x7fc00000, v50, s5
	s_delay_alu instid0(VALU_DEP_3)
	v_dual_mul_f32 v20, v32, v20 :: v_dual_mul_f32 v15, v15, v67
	v_mul_f32_e32 v32, v68, v53
	v_cndmask_b32_e64 v49, 0x7fc00000, v52, s7
	v_cndmask_b32_e64 v50, 0x7fc00000, v54, s9
	v_mul_f32_e32 v26, v38, v26
	v_mul_f32_e32 v38, v72, v57
	v_cndmask_b32_e64 v52, 0x7fc00000, v58, s13
	v_mul_f32_e32 v28, v40, v28
	v_cndmask_b32_e64 v16, 0x7fc00000, v16, s6
	v_cndmask_b32_e64 v21, 0x7fc00000, v21, s8
	;; [unrolled: 1-line block ×4, first 2 shown]
	v_mul_f32_e32 v27, v39, v27
	v_cndmask_b32_e64 v23, 0x7fc00000, v23, s12
	v_mul_f32_e32 v39, v74, v59
	v_mul_f32_e32 v1, v1, v61
	v_bfe_u32 v40, v24, 16, 1
	v_bfe_u32 v45, v17, 16, 1
	v_mul_f32_e32 v13, v13, v63
	v_bfe_u32 v53, v29, 16, 1
	v_bfe_u32 v46, v18, 16, 1
	v_mul_f32_e32 v14, v14, v65
	v_bfe_u32 v54, v30, 16, 1
	v_mul_f32_e32 v35, v47, v35
	v_bfe_u32 v47, v19, 16, 1
	v_bfe_u32 v55, v31, 16, 1
	v_mul_f32_e32 v36, v48, v36
	;; [unrolled: 5-line block ×3, first 2 shown]
	v_bfe_u32 v52, v28, 16, 1
	v_bfe_u32 v48, v20, 16, 1
	v_mul_f32_e32 v16, v16, v69
	v_mul_f32_e32 v41, v49, v41
	v_bfe_u32 v49, v25, 16, 1
	v_mul_f32_e32 v21, v21, v71
	v_bfe_u32 v57, v37, 16, 1
	v_dual_mul_f32 v22, v22, v73 :: v_dual_mul_f32 v43, v51, v43
	v_bfe_u32 v51, v27, 16, 1
	v_mul_f32_e32 v23, v23, v75
	v_bfe_u32 v59, v39, 16, 1
	v_bfe_u32 v60, v1, 16, 1
	v_add3_u32 v40, v24, v40, 0x7fff
	v_bfe_u32 v61, v33, 16, 1
	v_add3_u32 v45, v17, v45, 0x7fff
	;; [unrolled: 2-line block ×8, first 2 shown]
	v_add3_u32 v50, v26, v50, 0x7fff
	v_add3_u32 v58, v38, v58, 0x7fff
	;; [unrolled: 1-line block ×4, first 2 shown]
	v_bfe_u32 v68, v16, 16, 1
	v_bfe_u32 v69, v41, 16, 1
	v_add3_u32 v49, v25, v49, 0x7fff
	v_bfe_u32 v70, v21, 16, 1
	v_add3_u32 v57, v37, v57, 0x7fff
	v_bfe_u32 v71, v42, 16, 1
	v_bfe_u32 v72, v22, 16, 1
	;; [unrolled: 1-line block ×3, first 2 shown]
	v_add3_u32 v51, v27, v51, 0x7fff
	v_bfe_u32 v74, v23, 16, 1
	v_add3_u32 v59, v39, v59, 0x7fff
	v_bfe_u32 v75, v44, 16, 1
	v_add3_u32 v60, v1, v60, 0x7fff
	v_lshrrev_b32_e32 v40, 16, v40
	v_add3_u32 v61, v33, v61, 0x7fff
	v_lshrrev_b32_e32 v45, 16, v45
	v_cmp_o_f32_e64 s0, v17, v17
	v_add3_u32 v17, v13, v62, 0x7fff
	v_lshrrev_b32_e32 v53, 16, v53
	v_cmp_o_f32_e64 s1, v29, v29
	;; [unrolled: 3-line block ×7, first 2 shown]
	v_lshrrev_b32_e32 v50, 16, v50
	v_cmp_o_f32_e64 s10, v26, v26
	v_lshrrev_b32_e32 v58, 16, v58
	v_cmp_o_f32_e64 s11, v38, v38
	;; [unrolled: 2-line block ×3, first 2 shown]
	v_cmp_o_f32_e64 s15, v24, v24
	v_lshrrev_b32_e32 v48, 16, v48
	v_cmp_o_f32_e64 s6, v20, v20
	v_add3_u32 v20, v16, v68, 0x7fff
	v_add3_u32 v32, v41, v69, 0x7fff
	v_lshrrev_b32_e32 v49, 16, v49
	v_cmp_o_f32_e64 s8, v25, v25
	v_add3_u32 v25, v21, v70, 0x7fff
	v_lshrrev_b32_e32 v57, 16, v57
	v_cmp_o_f32_e64 s9, v37, v37
	v_add3_u32 v37, v42, v71, 0x7fff
	v_add3_u32 v26, v22, v72, 0x7fff
	;; [unrolled: 1-line block ×3, first 2 shown]
	v_lshrrev_b32_e32 v51, 16, v51
	v_cmp_o_f32_e64 s12, v27, v27
	v_add3_u32 v27, v23, v74, 0x7fff
	v_lshrrev_b32_e32 v59, 16, v59
	v_cmp_o_f32_e64 s13, v39, v39
	v_add3_u32 v39, v44, v75, 0x7fff
	v_lshrrev_b32_e32 v24, 16, v60
	v_cndmask_b32_e64 v28, 0x7fc0, v40, s15
	v_lshrrev_b32_e32 v40, 16, v61
	v_cmp_o_f32_e64 s15, v33, v33
	v_cndmask_b32_e64 v33, 0x7fc0, v45, s0
	v_lshrrev_b32_e32 v17, 16, v17
	v_cmp_o_f32_e64 s0, v13, v13
	;; [unrolled: 3-line block ×7, first 2 shown]
	v_cndmask_b32_e64 v36, 0x7fc0, v56, s7
	v_cmp_o_f32_e64 s7, v41, v41
	v_cndmask_b32_e64 v41, 0x7fc0, v50, s10
	v_cmp_o_f32_e64 s10, v22, v22
	;; [unrolled: 2-line block ×4, first 2 shown]
	v_cndmask_b32_e64 v31, 0x7fc0, v48, s6
	v_lshrrev_b32_e32 v20, 16, v20
	v_cmp_o_f32_e64 s6, v16, v16
	v_lshrrev_b32_e32 v16, 16, v32
	v_cndmask_b32_e64 v32, 0x7fc0, v49, s8
	v_lshrrev_b32_e32 v25, 16, v25
	v_cmp_o_f32_e64 s8, v21, v21
	v_cndmask_b32_e64 v21, 0x7fc0, v57, s9
	v_lshrrev_b32_e32 v37, 16, v37
	v_cmp_o_f32_e64 s9, v42, v42
	v_lshrrev_b32_e32 v26, 16, v26
	v_lshrrev_b32_e32 v38, 16, v38
	v_cndmask_b32_e64 v42, 0x7fc0, v51, s12
	v_lshrrev_b32_e32 v27, 16, v27
	v_cmp_o_f32_e64 s12, v23, v23
	v_cndmask_b32_e64 v23, 0x7fc0, v59, s13
	v_lshrrev_b32_e32 v39, 16, v39
	v_cmp_o_f32_e64 s13, v44, v44
	v_cndmask_b32_e64 v1, 0x7fc0, v24, s14
	v_cndmask_b32_e64 v24, 0x7fc0, v40, s15
	;; [unrolled: 1-line block ×16, first 2 shown]
	v_perm_b32 v13, v33, v28, 0x5040100
	v_perm_b32 v14, v29, v45, 0x5040100
	v_perm_b32 v15, v30, v34, 0x5040100
	v_perm_b32 v16, v31, v35, 0x5040100
	v_perm_b32 v17, v32, v36, 0x5040100
	v_perm_b32 v18, v41, v21, 0x5040100
	v_perm_b32 v19, v42, v22, 0x5040100
	v_perm_b32 v20, v43, v23, 0x5040100
	v_perm_b32 v21, v24, v1, 0x5040100
	v_perm_b32 v22, v44, v40, 0x5040100
	v_perm_b32 v23, v47, v46, 0x5040100
	v_perm_b32 v24, v49, v48, 0x5040100
	v_perm_b32 v25, v51, v50, 0x5040100
	v_perm_b32 v26, v37, v52, 0x5040100
	v_perm_b32 v27, v38, v53, 0x5040100
	v_perm_b32 v28, v39, v54, 0x5040100
	s_clause 0x3
	global_store_b128 v[5:6], v[13:16], off
	global_store_b128 v[5:6], v[17:20], off offset:16
	global_store_b128 v[7:8], v[21:24], off
	global_store_b128 v[7:8], v[25:28], off offset:16
	s_and_not1_b32 exec_lo, exec_lo, s26
	s_cbranch_execnz .LBB25_36
; %bb.37:
	s_or_b32 exec_lo, exec_lo, s26
	v_cmp_ne_u32_e32 vcc_lo, v10, v11
	v_add_nc_u32_e32 v0, v0, v11
	s_and_not1_b32 s0, s19, exec_lo
	s_and_b32 s1, vcc_lo, exec_lo
	s_delay_alu instid0(SALU_CYCLE_1) | instskip(SKIP_1) | instid1(SALU_CYCLE_1)
	s_or_b32 s19, s0, s1
	s_or_b32 exec_lo, exec_lo, s25
	s_and_b32 exec_lo, exec_lo, s19
	s_cbranch_execz .LBB25_40
.LBB25_38:
	v_mov_b32_e32 v1, 0
	s_waitcnt lgkmcnt(0)
	v_mov_b32_e32 v3, v9
	s_mov_b32 s19, 0
	s_lshl_b32 s25, s22, 5
	v_lshlrev_b64 v[1:2], 5, v[0:1]
.LBB25_39:                              ; =>This Inner Loop Header: Depth=1
	s_delay_alu instid0(VALU_DEP_1) | instskip(NEXT) | instid1(VALU_DEP_2)
	v_add_co_u32 v14, vcc_lo, s20, v1
	v_add_co_ci_u32_e32 v15, vcc_lo, s21, v2, vcc_lo
	v_add_co_u32 v18, vcc_lo, s16, v1
	v_add_co_ci_u32_e32 v19, vcc_lo, s17, v2, vcc_lo
	v_add_co_u32 v22, vcc_lo, s18, v1
	global_load_b128 v[4:7], v[14:15], off
	global_load_b128 v[10:13], v[18:19], off
	global_load_b128 v[14:17], v[14:15], off offset:16
	global_load_b128 v[18:21], v[18:19], off offset:16
	v_add_co_ci_u32_e32 v23, vcc_lo, s24, v2, vcc_lo
	s_add_u32 s18, s18, s25
	s_addc_u32 s24, s24, 0
	s_add_u32 s20, s20, s25
	s_addc_u32 s21, s21, 0
	;; [unrolled: 2-line block ×3, first 2 shown]
	s_waitcnt vmcnt(3)
	v_lshlrev_b32_e32 v25, 16, v5
	v_lshlrev_b32_e32 v8, 16, v4
	s_waitcnt vmcnt(1)
	v_lshlrev_b32_e32 v35, 16, v16
	v_and_b32_e32 v16, 0xffff0000, v16
	v_lshlrev_b32_e32 v27, 16, v6
	s_waitcnt vmcnt(0)
	v_and_b32_e32 v36, 0xffff0000, v20
	v_lshlrev_b32_e32 v20, 16, v20
	v_and_b32_e32 v38, 0xffff0000, v21
	v_mul_f32_e32 v16, v3, v16
	v_dual_mul_f32 v27, v9, v27 :: v_dual_and_b32 v4, 0xffff0000, v4
	v_lshlrev_b32_e32 v37, 16, v17
	v_and_b32_e32 v17, 0xffff0000, v17
	s_delay_alu instid0(VALU_DEP_3) | instskip(SKIP_4) | instid1(VALU_DEP_4)
	v_dual_mul_f32 v4, v3, v4 :: v_dual_lshlrev_b32 v21, 16, v21
	v_mul_f32_e32 v25, v9, v25
	v_dual_mul_f32 v8, v9, v8 :: v_dual_and_b32 v5, 0xffff0000, v5
	v_lshlrev_b32_e32 v33, 16, v15
	v_and_b32_e32 v26, 0xffff0000, v11
	v_bfe_u32 v41, v25, 16, 1
	v_cmp_o_f32_e64 s2, v25, v25
	v_bfe_u32 v39, v8, 16, 1
	v_cmp_o_f32_e64 s0, v8, v8
	v_dual_mul_f32 v5, v3, v5 :: v_dual_add_nc_u32 v0, s22, v0
	v_add3_u32 v41, v25, v41, 0x7fff
	s_delay_alu instid0(VALU_DEP_4)
	v_add3_u32 v39, v8, v39, 0x7fff
	v_bfe_u32 v43, v27, 16, 1
	v_cmp_o_f32_e64 s4, v27, v27
	v_bfe_u32 v42, v5, 16, 1
	v_and_b32_e32 v8, 0xffff0000, v41
	v_mul_f32_e32 v17, v3, v17
	v_and_b32_e32 v39, 0xffff0000, v39
	v_add3_u32 v43, v27, v43, 0x7fff
	v_add3_u32 v42, v5, v42, 0x7fff
	v_cndmask_b32_e64 v8, 0x7fc00000, v8, s2
	v_lshlrev_b32_e32 v31, 16, v14
	v_and_b32_e32 v14, 0xffff0000, v14
	v_lshlrev_b32_e32 v29, 16, v7
	v_bfe_u32 v54, v17, 16, 1
	s_delay_alu instid0(VALU_DEP_4) | instskip(NEXT) | instid1(VALU_DEP_3)
	v_dual_mul_f32 v31, v9, v31 :: v_dual_and_b32 v6, 0xffff0000, v6
	v_dual_mul_f32 v14, v3, v14 :: v_dual_mul_f32 v29, v9, v29
	s_delay_alu instid0(VALU_DEP_3)
	v_add3_u32 v54, v17, v54, 0x7fff
	v_cmp_o_f32_e64 s13, v17, v17
	v_cndmask_b32_e64 v17, 0x7fc00000, v39, s0
	v_and_b32_e32 v7, 0xffff0000, v7
	v_and_b32_e32 v24, 0xffff0000, v10
	v_lshlrev_b32_e32 v10, 16, v10
	v_dual_mul_f32 v6, v3, v6 :: v_dual_lshlrev_b32 v11, 16, v11
	v_bfe_u32 v45, v29, 16, 1
	v_cmp_o_f32_e64 s6, v29, v29
	v_cmp_o_f32_e64 s1, v5, v5
	v_and_b32_e32 v5, 0xffff0000, v43
	v_bfe_u32 v44, v6, 16, 1
	v_add3_u32 v45, v29, v45, 0x7fff
	v_cmp_o_f32_e64 s3, v6, v6
	v_mul_f32_e32 v10, v17, v10
	v_mul_f32_e32 v35, v9, v35
	v_add3_u32 v44, v6, v44, 0x7fff
	v_dual_mul_f32 v7, v3, v7 :: v_dual_and_b32 v6, 0xffff0000, v45
	v_cndmask_b32_e64 v5, 0x7fc00000, v5, s4
	s_delay_alu instid0(VALU_DEP_4) | instskip(NEXT) | instid1(VALU_DEP_4)
	v_bfe_u32 v51, v35, 16, 1
	v_and_b32_e32 v25, 0xffff0000, v44
	s_delay_alu instid0(VALU_DEP_4)
	v_cndmask_b32_e64 v6, 0x7fc00000, v6, s6
	v_and_b32_e32 v15, 0xffff0000, v15
	v_and_b32_e32 v28, 0xffff0000, v12
	v_lshlrev_b32_e32 v12, 16, v12
	v_add3_u32 v51, v35, v51, 0x7fff
	v_cmp_o_f32_e64 s12, v35, v35
	v_mul_f32_e32 v15, v3, v15
	v_and_b32_e32 v35, 0xffff0000, v54
	v_cndmask_b32_e64 v25, 0x7fc00000, v25, s3
	v_bfe_u32 v40, v4, 16, 1
	v_bfe_u32 v46, v7, 16, 1
	;; [unrolled: 1-line block ×3, first 2 shown]
	v_cmp_o_f32_e64 s9, v15, v15
	v_cndmask_b32_e64 v35, 0x7fc00000, v35, s13
	v_bfe_u32 v47, v31, 16, 1
	v_bfe_u32 v48, v14, 16, 1
	v_add3_u32 v50, v15, v50, 0x7fff
	v_and_b32_e32 v15, 0xffff0000, v51
	v_mul_f32_e32 v5, v5, v12
	v_mul_f32_e32 v12, v25, v28
	;; [unrolled: 1-line block ×3, first 2 shown]
	v_bfe_u32 v52, v16, 16, 1
	v_cndmask_b32_e64 v15, 0x7fc00000, v15, s12
	v_add3_u32 v40, v4, v40, 0x7fff
	v_add3_u32 v46, v7, v46, 0x7fff
	v_bfe_u32 v49, v33, 16, 1
	v_add3_u32 v48, v14, v48, 0x7fff
	v_mul_f32_e32 v15, v15, v20
	v_mul_f32_e32 v20, v35, v38
	v_dual_mul_f32 v37, v9, v37 :: v_dual_and_b32 v32, 0xffff0000, v18
	v_lshlrev_b32_e32 v18, 16, v18
	v_add3_u32 v47, v31, v47, 0x7fff
	v_add3_u32 v49, v33, v49, 0x7fff
	;; [unrolled: 1-line block ×3, first 2 shown]
	v_bfe_u32 v53, v37, 16, 1
	v_and_b32_e32 v40, 0xffff0000, v40
	v_and_b32_e32 v41, 0xffff0000, v42
	;; [unrolled: 1-line block ×3, first 2 shown]
	v_cmp_o_f32_e64 s5, v7, v7
	v_add3_u32 v53, v37, v53, 0x7fff
	v_cmp_o_f32_e64 s15, v4, v4
	v_and_b32_e32 v7, 0xffff0000, v47
	v_and_b32_e32 v29, 0xffff0000, v48
	v_cmp_o_f32_e64 s7, v14, v14
	v_cmp_o_f32_e64 s8, v31, v31
	v_and_b32_e32 v14, 0xffff0000, v49
	v_and_b32_e32 v31, 0xffff0000, v50
	v_cmp_o_f32_e64 s10, v33, v33
	v_and_b32_e32 v33, 0xffff0000, v52
	v_cmp_o_f32_e64 s11, v16, v16
	;; [unrolled: 2-line block ×3, first 2 shown]
	v_cndmask_b32_e64 v4, 0x7fc00000, v40, s15
	v_cndmask_b32_e64 v37, 0x7fc00000, v41, s1
	v_and_b32_e32 v30, 0xffff0000, v13
	v_lshlrev_b32_e32 v13, 16, v13
	v_cndmask_b32_e64 v27, 0x7fc00000, v27, s5
	v_mul_f32_e32 v4, v4, v24
	v_cndmask_b32_e64 v29, 0x7fc00000, v29, s7
	v_cndmask_b32_e64 v7, 0x7fc00000, v7, s8
	;; [unrolled: 1-line block ×6, first 2 shown]
	v_dual_mul_f32 v8, v8, v11 :: v_dual_mul_f32 v11, v37, v26
	v_and_b32_e32 v34, 0xffff0000, v19
	v_dual_mul_f32 v6, v6, v13 :: v_dual_mul_f32 v13, v27, v30
	v_lshlrev_b32_e32 v19, 16, v19
	v_mul_f32_e32 v7, v7, v18
	s_delay_alu instid0(VALU_DEP_4) | instskip(SKIP_1) | instid1(VALU_DEP_4)
	v_dual_mul_f32 v18, v31, v34 :: v_dual_mul_f32 v17, v29, v32
	v_mul_f32_e32 v16, v16, v21
	v_dual_mul_f32 v14, v14, v19 :: v_dual_mul_f32 v19, v33, v36
	v_bfe_u32 v21, v4, 16, 1
	v_bfe_u32 v24, v10, 16, 1
	;; [unrolled: 1-line block ×16, first 2 shown]
	v_add3_u32 v24, v10, v24, 0x7fff
	v_add3_u32 v21, v4, v21, 0x7fff
	;; [unrolled: 1-line block ×16, first 2 shown]
	v_lshrrev_b32_e32 v21, 16, v21
	v_lshrrev_b32_e32 v24, 16, v24
	v_cmp_o_f32_e64 s0, v10, v10
	v_lshrrev_b32_e32 v10, 16, v25
	v_lshrrev_b32_e32 v25, 16, v26
	v_cmp_o_f32_e64 s1, v11, v11
	v_cmp_o_f32_e64 s2, v8, v8
	v_lshrrev_b32_e32 v8, 16, v27
	v_lshrrev_b32_e32 v11, 16, v28
	v_cmp_o_f32_e64 s3, v12, v12
	;; [unrolled: 4-line block ×3, first 2 shown]
	v_cmp_o_f32_e64 s6, v6, v6
	v_cmp_o_f32_e64 s15, v4, v4
	v_lshrrev_b32_e32 v6, 16, v31
	v_lshrrev_b32_e32 v13, 16, v32
	v_cmp_o_f32_e64 s7, v17, v17
	v_cmp_o_f32_e64 s8, v7, v7
	v_lshrrev_b32_e32 v7, 16, v33
	v_lshrrev_b32_e32 v17, 16, v34
	;; [unrolled: 4-line block ×4, first 2 shown]
	v_cmp_o_f32_e64 s13, v20, v20
	v_cmp_o_f32_e64 s14, v16, v16
	v_cndmask_b32_e64 v4, 0x7fc0, v21, s15
	v_cndmask_b32_e64 v16, 0x7fc0, v24, s0
	;; [unrolled: 1-line block ×16, first 2 shown]
	v_cmp_le_i32_e32 vcc_lo, s23, v0
	v_perm_b32 v7, v5, v12, 0x5040100
	v_perm_b32 v6, v8, v11, 0x5040100
	;; [unrolled: 1-line block ×8, first 2 shown]
	s_or_b32 s19, vcc_lo, s19
	s_clause 0x1
	global_store_b128 v[22:23], v[4:7], off
	global_store_b128 v[22:23], v[10:13], off offset:16
	s_and_not1_b32 exec_lo, exec_lo, s19
	s_cbranch_execnz .LBB25_39
.LBB25_40:
	s_nop 0
	s_sendmsg sendmsg(MSG_DEALLOC_VGPRS)
	s_endpgm
	.section	.rodata,"a",@progbits
	.p2align	6, 0x0
	.amdhsa_kernel _ZN4vllm15rms_norm_kernelIN3c108BFloat16ELi16ELi3EEEvPT_PKS3_lllllS6_fii
		.amdhsa_group_segment_fixed_size 132
		.amdhsa_private_segment_fixed_size 0
		.amdhsa_kernarg_size 336
		.amdhsa_user_sgpr_count 15
		.amdhsa_user_sgpr_dispatch_ptr 0
		.amdhsa_user_sgpr_queue_ptr 0
		.amdhsa_user_sgpr_kernarg_segment_ptr 1
		.amdhsa_user_sgpr_dispatch_id 0
		.amdhsa_user_sgpr_private_segment_size 0
		.amdhsa_wavefront_size32 1
		.amdhsa_uses_dynamic_stack 0
		.amdhsa_enable_private_segment 0
		.amdhsa_system_sgpr_workgroup_id_x 1
		.amdhsa_system_sgpr_workgroup_id_y 0
		.amdhsa_system_sgpr_workgroup_id_z 0
		.amdhsa_system_sgpr_workgroup_info 0
		.amdhsa_system_vgpr_workitem_id 0
		.amdhsa_next_free_vgpr 94
		.amdhsa_next_free_sgpr 27
		.amdhsa_reserve_vcc 1
		.amdhsa_float_round_mode_32 0
		.amdhsa_float_round_mode_16_64 0
		.amdhsa_float_denorm_mode_32 3
		.amdhsa_float_denorm_mode_16_64 3
		.amdhsa_dx10_clamp 1
		.amdhsa_ieee_mode 1
		.amdhsa_fp16_overflow 0
		.amdhsa_workgroup_processor_mode 1
		.amdhsa_memory_ordered 1
		.amdhsa_forward_progress 0
		.amdhsa_shared_vgpr_count 0
		.amdhsa_exception_fp_ieee_invalid_op 0
		.amdhsa_exception_fp_denorm_src 0
		.amdhsa_exception_fp_ieee_div_zero 0
		.amdhsa_exception_fp_ieee_overflow 0
		.amdhsa_exception_fp_ieee_underflow 0
		.amdhsa_exception_fp_ieee_inexact 0
		.amdhsa_exception_int_div_zero 0
	.end_amdhsa_kernel
	.section	.text._ZN4vllm15rms_norm_kernelIN3c108BFloat16ELi16ELi3EEEvPT_PKS3_lllllS6_fii,"axG",@progbits,_ZN4vllm15rms_norm_kernelIN3c108BFloat16ELi16ELi3EEEvPT_PKS3_lllllS6_fii,comdat
.Lfunc_end25:
	.size	_ZN4vllm15rms_norm_kernelIN3c108BFloat16ELi16ELi3EEEvPT_PKS3_lllllS6_fii, .Lfunc_end25-_ZN4vllm15rms_norm_kernelIN3c108BFloat16ELi16ELi3EEEvPT_PKS3_lllllS6_fii
                                        ; -- End function
	.section	.AMDGPU.csdata,"",@progbits
; Kernel info:
; codeLenInByte = 9396
; NumSgprs: 29
; NumVgprs: 94
; ScratchSize: 0
; MemoryBound: 0
; FloatMode: 240
; IeeeMode: 1
; LDSByteSize: 132 bytes/workgroup (compile time only)
; SGPRBlocks: 3
; VGPRBlocks: 11
; NumSGPRsForWavesPerEU: 29
; NumVGPRsForWavesPerEU: 94
; Occupancy: 16
; WaveLimiterHint : 0
; COMPUTE_PGM_RSRC2:SCRATCH_EN: 0
; COMPUTE_PGM_RSRC2:USER_SGPR: 15
; COMPUTE_PGM_RSRC2:TRAP_HANDLER: 0
; COMPUTE_PGM_RSRC2:TGID_X_EN: 1
; COMPUTE_PGM_RSRC2:TGID_Y_EN: 0
; COMPUTE_PGM_RSRC2:TGID_Z_EN: 0
; COMPUTE_PGM_RSRC2:TIDIG_COMP_CNT: 0
	.section	.text._ZN4vllm15rms_norm_kernelIN3c108BFloat16ELi8ELi3EEEvPT_PKS3_lllllS6_fii,"axG",@progbits,_ZN4vllm15rms_norm_kernelIN3c108BFloat16ELi8ELi3EEEvPT_PKS3_lllllS6_fii,comdat
	.protected	_ZN4vllm15rms_norm_kernelIN3c108BFloat16ELi8ELi3EEEvPT_PKS3_lllllS6_fii ; -- Begin function _ZN4vllm15rms_norm_kernelIN3c108BFloat16ELi8ELi3EEEvPT_PKS3_lllllS6_fii
	.globl	_ZN4vllm15rms_norm_kernelIN3c108BFloat16ELi8ELi3EEEvPT_PKS3_lllllS6_fii
	.p2align	8
	.type	_ZN4vllm15rms_norm_kernelIN3c108BFloat16ELi8ELi3EEEvPT_PKS3_lllllS6_fii,@function
_ZN4vllm15rms_norm_kernelIN3c108BFloat16ELi8ELi3EEEvPT_PKS3_lllllS6_fii: ; @_ZN4vllm15rms_norm_kernelIN3c108BFloat16ELi8ELi3EEEvPT_PKS3_lllllS6_fii
; %bb.0:
	s_clause 0x1
	s_load_b64 s[2:3], s[0:1], 0x28
	s_load_b64 s[4:5], s[0:1], 0x8
	s_mov_b32 s6, 0
	s_waitcnt lgkmcnt(0)
	s_mov_b32 s7, s3
	s_delay_alu instid0(SALU_CYCLE_1)
	s_cmp_lg_u64 s[6:7], 0
	s_cbranch_scc0 .LBB26_33
; %bb.1:
	s_ashr_i32 s8, s3, 31
	s_delay_alu instid0(SALU_CYCLE_1) | instskip(SKIP_2) | instid1(SALU_CYCLE_1)
	s_add_u32 s10, s2, s8
	s_mov_b32 s9, s8
	s_addc_u32 s11, s3, s8
	s_xor_b64 s[10:11], s[10:11], s[8:9]
	s_delay_alu instid0(SALU_CYCLE_1) | instskip(SKIP_3) | instid1(VALU_DEP_1)
	v_cvt_f32_u32_e32 v1, s10
	v_cvt_f32_u32_e32 v2, s11
	s_sub_u32 s12, 0, s10
	s_subb_u32 s13, 0, s11
	v_fmamk_f32 v1, v2, 0x4f800000, v1
	s_delay_alu instid0(VALU_DEP_1) | instskip(SKIP_2) | instid1(VALU_DEP_1)
	v_rcp_f32_e32 v1, v1
	s_waitcnt_depctr 0xfff
	v_mul_f32_e32 v1, 0x5f7ffffc, v1
	v_mul_f32_e32 v2, 0x2f800000, v1
	s_delay_alu instid0(VALU_DEP_1) | instskip(NEXT) | instid1(VALU_DEP_1)
	v_trunc_f32_e32 v2, v2
	v_fmamk_f32 v1, v2, 0xcf800000, v1
	v_cvt_u32_f32_e32 v2, v2
	s_delay_alu instid0(VALU_DEP_2) | instskip(NEXT) | instid1(VALU_DEP_2)
	v_cvt_u32_f32_e32 v1, v1
	v_readfirstlane_b32 s3, v2
	s_delay_alu instid0(VALU_DEP_2) | instskip(NEXT) | instid1(VALU_DEP_2)
	v_readfirstlane_b32 s7, v1
	s_mul_i32 s14, s12, s3
	s_delay_alu instid0(VALU_DEP_1)
	s_mul_hi_u32 s17, s12, s7
	s_mul_i32 s16, s13, s7
	s_add_i32 s14, s17, s14
	s_mul_i32 s18, s12, s7
	s_add_i32 s14, s14, s16
	s_mul_hi_u32 s17, s7, s18
	s_mul_hi_u32 s19, s3, s18
	s_mul_i32 s16, s3, s18
	s_mul_hi_u32 s18, s7, s14
	s_mul_i32 s7, s7, s14
	s_mul_hi_u32 s20, s3, s14
	s_add_u32 s7, s17, s7
	s_addc_u32 s17, 0, s18
	s_add_u32 s7, s7, s16
	s_mul_i32 s14, s3, s14
	s_addc_u32 s7, s17, s19
	s_addc_u32 s16, s20, 0
	s_add_u32 s7, s7, s14
	s_addc_u32 s14, 0, s16
	v_add_co_u32 v1, s7, v1, s7
	s_delay_alu instid0(VALU_DEP_1) | instskip(SKIP_1) | instid1(VALU_DEP_1)
	s_cmp_lg_u32 s7, 0
	s_addc_u32 s3, s3, s14
	v_readfirstlane_b32 s7, v1
	s_mul_i32 s14, s12, s3
	s_delay_alu instid0(VALU_DEP_1)
	s_mul_hi_u32 s16, s12, s7
	s_mul_i32 s13, s13, s7
	s_add_i32 s14, s16, s14
	s_mul_i32 s12, s12, s7
	s_add_i32 s14, s14, s13
	s_mul_hi_u32 s16, s3, s12
	s_mul_i32 s17, s3, s12
	s_mul_hi_u32 s12, s7, s12
	s_mul_hi_u32 s18, s7, s14
	s_mul_i32 s7, s7, s14
	s_mul_hi_u32 s13, s3, s14
	s_add_u32 s7, s12, s7
	s_addc_u32 s12, 0, s18
	s_add_u32 s7, s7, s17
	s_mul_i32 s14, s3, s14
	s_addc_u32 s7, s12, s16
	s_addc_u32 s12, s13, 0
	s_add_u32 s7, s7, s14
	s_addc_u32 s12, 0, s12
	v_add_co_u32 v1, s7, v1, s7
	s_delay_alu instid0(VALU_DEP_1) | instskip(SKIP_1) | instid1(VALU_DEP_1)
	s_cmp_lg_u32 s7, 0
	s_addc_u32 s3, s3, s12
	v_readfirstlane_b32 s7, v1
	s_mul_i32 s12, s15, s3
	s_mul_hi_u32 s3, s15, s3
	s_delay_alu instid0(VALU_DEP_1) | instskip(NEXT) | instid1(SALU_CYCLE_1)
	s_mul_hi_u32 s7, s15, s7
	s_add_u32 s7, s7, s12
	s_addc_u32 s3, 0, s3
	s_add_u32 s7, s7, 0
	s_addc_u32 s3, s3, 0
	s_addc_u32 s7, 0, 0
	s_add_u32 s3, s3, 0
	s_addc_u32 s7, 0, s7
	s_mul_hi_u32 s12, s10, s3
	s_mul_i32 s14, s10, s7
	s_mul_i32 s16, s10, s3
	s_add_i32 s12, s12, s14
	v_sub_co_u32 v1, s14, s15, s16
	s_mul_i32 s13, s11, s3
	s_delay_alu instid0(SALU_CYCLE_1) | instskip(NEXT) | instid1(VALU_DEP_1)
	s_add_i32 s12, s12, s13
	v_sub_co_u32 v2, s16, v1, s10
	s_sub_i32 s13, 0, s12
	s_cmp_lg_u32 s14, 0
	s_subb_u32 s13, s13, s11
	s_cmp_lg_u32 s16, 0
	v_readfirstlane_b32 s16, v2
	s_subb_u32 s13, s13, 0
	s_delay_alu instid0(SALU_CYCLE_1) | instskip(SKIP_1) | instid1(VALU_DEP_1)
	s_cmp_ge_u32 s13, s11
	s_cselect_b32 s17, -1, 0
	s_cmp_ge_u32 s16, s10
	s_cselect_b32 s16, -1, 0
	s_cmp_eq_u32 s13, s11
	s_cselect_b32 s13, s16, s17
	s_add_u32 s16, s3, 1
	s_addc_u32 s17, s7, 0
	s_add_u32 s18, s3, 2
	s_addc_u32 s19, s7, 0
	s_cmp_lg_u32 s13, 0
	s_cselect_b32 s13, s18, s16
	s_cselect_b32 s16, s19, s17
	s_cmp_lg_u32 s14, 0
	v_readfirstlane_b32 s14, v1
	s_subb_u32 s12, 0, s12
	s_delay_alu instid0(SALU_CYCLE_1) | instskip(SKIP_1) | instid1(VALU_DEP_1)
	s_cmp_ge_u32 s12, s11
	s_cselect_b32 s17, -1, 0
	s_cmp_ge_u32 s14, s10
	s_cselect_b32 s10, -1, 0
	s_cmp_eq_u32 s12, s11
	s_cselect_b32 s10, s10, s17
	s_delay_alu instid0(SALU_CYCLE_1) | instskip(SKIP_2) | instid1(SALU_CYCLE_1)
	s_cmp_lg_u32 s10, 0
	s_cselect_b32 s11, s16, s7
	s_cselect_b32 s10, s13, s3
	s_xor_b64 s[10:11], s[10:11], s[8:9]
	s_delay_alu instid0(SALU_CYCLE_1)
	s_sub_u32 s10, s10, s8
	s_subb_u32 s11, s11, s8
	s_and_not1_b32 vcc_lo, exec_lo, s6
	s_cbranch_vccnz .LBB26_3
.LBB26_2:
	v_cvt_f32_u32_e32 v1, s2
	s_sub_i32 s6, 0, s2
	s_mov_b32 s11, 0
	s_delay_alu instid0(VALU_DEP_1) | instskip(SKIP_2) | instid1(VALU_DEP_1)
	v_rcp_iflag_f32_e32 v1, v1
	s_waitcnt_depctr 0xfff
	v_mul_f32_e32 v1, 0x4f7ffffe, v1
	v_cvt_u32_f32_e32 v1, v1
	s_delay_alu instid0(VALU_DEP_1) | instskip(NEXT) | instid1(VALU_DEP_1)
	v_readfirstlane_b32 s3, v1
	s_mul_i32 s6, s6, s3
	s_delay_alu instid0(SALU_CYCLE_1) | instskip(NEXT) | instid1(SALU_CYCLE_1)
	s_mul_hi_u32 s6, s3, s6
	s_add_i32 s3, s3, s6
	s_delay_alu instid0(SALU_CYCLE_1) | instskip(NEXT) | instid1(SALU_CYCLE_1)
	s_mul_hi_u32 s3, s15, s3
	s_mul_i32 s6, s3, s2
	s_add_i32 s7, s3, 1
	s_sub_i32 s6, s15, s6
	s_delay_alu instid0(SALU_CYCLE_1)
	s_sub_i32 s8, s6, s2
	s_cmp_ge_u32 s6, s2
	s_cselect_b32 s3, s7, s3
	s_cselect_b32 s6, s8, s6
	s_add_i32 s7, s3, 1
	s_cmp_ge_u32 s6, s2
	s_cselect_b32 s10, s7, s3
.LBB26_3:
	s_load_b128 s[16:19], s[0:1], 0x10
	s_bfe_i64 s[6:7], s[10:11], 0x200000
	s_clause 0x1
	s_load_b32 s3, s[0:1], 0x48
	s_load_b32 s14, s[0:1], 0x5c
	s_mul_i32 s2, s10, s2
	s_delay_alu instid0(SALU_CYCLE_1)
	s_sub_i32 s2, s15, s2
	s_waitcnt lgkmcnt(0)
	s_mul_i32 s6, s10, s19
	s_mul_hi_u32 s8, s10, s18
	s_mul_i32 s7, s7, s18
	s_add_i32 s8, s8, s6
	s_mul_i32 s6, s10, s18
	s_add_i32 s7, s8, s7
	s_mul_i32 s8, s2, s17
	s_lshl_b64 s[6:7], s[6:7], 1
	s_mul_hi_u32 s9, s2, s16
	s_add_u32 s10, s4, s6
	s_addc_u32 s13, s5, s7
	s_ashr_i32 s11, s2, 31
	s_add_i32 s9, s9, s8
	s_mul_i32 s11, s11, s16
	s_mul_i32 s8, s2, s16
	s_add_i32 s9, s9, s11
	s_mov_b32 s11, 0
	s_lshl_b64 s[8:9], s[8:9], 1
	s_delay_alu instid0(SALU_CYCLE_1)
	s_add_u32 s12, s10, s8
	s_addc_u32 s13, s13, s9
	s_and_b32 s10, s12, 15
	s_and_b32 s14, s14, 0xffff
	s_cmp_lg_u64 s[10:11], 0
	s_cselect_b32 s2, -1, 0
	s_and_b32 s10, s3, 7
	s_delay_alu instid0(SALU_CYCLE_1) | instskip(SKIP_1) | instid1(SALU_CYCLE_1)
	s_cmp_lg_u32 s10, 0
	s_cselect_b32 s10, -1, 0
	s_or_b32 s2, s10, s2
	s_delay_alu instid0(SALU_CYCLE_1)
	s_and_b32 vcc_lo, exec_lo, s2
	s_cbranch_vccz .LBB26_17
; %bb.4:
	s_sub_i32 s2, 0, s12
	v_mov_b32_e32 v4, 0
	s_bfe_u32 s2, s2, 0x30001
	s_mov_b32 s11, exec_lo
	s_min_i32 s10, s2, s3
	s_delay_alu instid0(SALU_CYCLE_1)
	v_cmpx_gt_i32_e64 s10, v0
	s_cbranch_execz .LBB26_8
; %bb.5:
	v_dual_mov_b32 v4, 0 :: v_dual_lshlrev_b32 v1, 1, v0
	s_add_u32 s2, s8, s6
	s_addc_u32 s16, s9, s7
	s_add_u32 s2, s4, s2
	s_addc_u32 s16, s5, s16
	v_add_co_u32 v1, s2, s2, v1
	s_delay_alu instid0(VALU_DEP_1)
	v_add_co_ci_u32_e64 v2, null, s16, 0, s2
	v_mov_b32_e32 v3, v0
	s_mov_b32 s16, 0
	s_lshl_b32 s17, s14, 1
.LBB26_6:                               ; =>This Inner Loop Header: Depth=1
	global_load_u16 v5, v[1:2], off
	v_add_co_u32 v1, vcc_lo, v1, s17
	v_add_co_ci_u32_e32 v2, vcc_lo, 0, v2, vcc_lo
	s_waitcnt vmcnt(0)
	v_lshlrev_b32_e32 v5, 16, v5
	s_delay_alu instid0(VALU_DEP_1) | instskip(NEXT) | instid1(VALU_DEP_1)
	v_dual_fmac_f32 v4, v5, v5 :: v_dual_add_nc_u32 v3, s14, v3
	v_cmp_le_i32_e64 s2, s10, v3
	s_delay_alu instid0(VALU_DEP_1) | instskip(NEXT) | instid1(SALU_CYCLE_1)
	s_or_b32 s16, s2, s16
	s_and_not1_b32 exec_lo, exec_lo, s16
	s_cbranch_execnz .LBB26_6
; %bb.7:
	s_or_b32 exec_lo, exec_lo, s16
.LBB26_8:
	s_delay_alu instid0(SALU_CYCLE_1)
	s_or_b32 exec_lo, exec_lo, s11
	s_sub_i32 s16, s3, s10
	s_ashr_i32 s11, s10, 31
	s_ashr_i32 s2, s16, 31
	s_mov_b32 s18, exec_lo
	s_lshr_b32 s2, s2, 29
	s_delay_alu instid0(SALU_CYCLE_1) | instskip(NEXT) | instid1(SALU_CYCLE_1)
	s_add_i32 s2, s16, s2
	s_ashr_i32 s17, s2, 3
	s_delay_alu instid0(SALU_CYCLE_1)
	v_cmpx_gt_i32_e64 s17, v0
	s_cbranch_execz .LBB26_12
; %bb.9:
	s_add_u32 s2, s8, s6
	s_addc_u32 s19, s9, s7
	s_lshl_b64 s[20:21], s[10:11], 1
	v_lshlrev_b32_e32 v1, 4, v0
	s_add_u32 s20, s4, s20
	s_addc_u32 s21, s5, s21
	s_add_u32 s2, s20, s2
	s_addc_u32 s19, s21, s19
	v_add_co_u32 v1, s2, s2, v1
	s_delay_alu instid0(VALU_DEP_1)
	v_add_co_ci_u32_e64 v2, null, s19, 0, s2
	v_mov_b32_e32 v3, v0
	s_mov_b32 s19, 0
	s_lshl_b32 s20, s14, 4
	.p2align	6
.LBB26_10:                              ; =>This Inner Loop Header: Depth=1
	global_load_b128 v[5:8], v[1:2], off
	v_add_co_u32 v1, vcc_lo, v1, s20
	v_add_co_ci_u32_e32 v2, vcc_lo, 0, v2, vcc_lo
	v_add_nc_u32_e32 v3, s14, v3
	s_delay_alu instid0(VALU_DEP_1) | instskip(NEXT) | instid1(VALU_DEP_1)
	v_cmp_le_i32_e64 s2, s17, v3
	s_or_b32 s19, s2, s19
	s_waitcnt vmcnt(0)
	v_lshlrev_b32_e32 v9, 16, v5
	v_and_b32_e32 v5, 0xffff0000, v5
	s_delay_alu instid0(VALU_DEP_2) | instskip(NEXT) | instid1(VALU_DEP_1)
	v_dual_fmac_f32 v4, v9, v9 :: v_dual_lshlrev_b32 v9, 16, v6
	v_dual_fmac_f32 v4, v5, v5 :: v_dual_and_b32 v5, 0xffff0000, v6
	v_lshlrev_b32_e32 v6, 16, v7
	s_delay_alu instid0(VALU_DEP_2) | instskip(NEXT) | instid1(VALU_DEP_1)
	v_fmac_f32_e32 v4, v9, v9
	v_dual_fmac_f32 v4, v5, v5 :: v_dual_and_b32 v5, 0xffff0000, v7
	s_delay_alu instid0(VALU_DEP_1) | instskip(SKIP_1) | instid1(VALU_DEP_2)
	v_fmac_f32_e32 v4, v6, v6
	v_lshlrev_b32_e32 v6, 16, v8
	v_dual_fmac_f32 v4, v5, v5 :: v_dual_and_b32 v5, 0xffff0000, v8
	s_delay_alu instid0(VALU_DEP_1) | instskip(NEXT) | instid1(VALU_DEP_1)
	v_fmac_f32_e32 v4, v6, v6
	v_fmac_f32_e32 v4, v5, v5
	s_and_not1_b32 exec_lo, exec_lo, s19
	s_cbranch_execnz .LBB26_10
; %bb.11:
	s_or_b32 exec_lo, exec_lo, s19
.LBB26_12:
	s_delay_alu instid0(SALU_CYCLE_1) | instskip(SKIP_2) | instid1(VALU_DEP_1)
	s_or_b32 exec_lo, exec_lo, s18
	v_lshl_add_u32 v1, s17, 3, v0
	s_mov_b32 s17, exec_lo
	v_cmpx_gt_i32_e64 s16, v1
	s_cbranch_execz .LBB26_16
; %bb.13:
	v_ashrrev_i32_e32 v2, 31, v1
	s_add_u32 s2, s8, s6
	s_addc_u32 s18, s9, s7
	s_lshl_b64 s[10:11], s[10:11], 1
	s_delay_alu instid0(SALU_CYCLE_1)
	s_add_u32 s2, s2, s10
	v_lshlrev_b64 v[2:3], 1, v[1:2]
	s_addc_u32 s10, s18, s11
	s_add_u32 s2, s4, s2
	s_addc_u32 s10, s5, s10
	s_lshl_b32 s11, s14, 1
	s_delay_alu instid0(VALU_DEP_1)
	v_add_co_u32 v2, vcc_lo, s2, v2
	v_add_co_ci_u32_e32 v3, vcc_lo, s10, v3, vcc_lo
	s_mov_b32 s10, 0
.LBB26_14:                              ; =>This Inner Loop Header: Depth=1
	global_load_u16 v5, v[2:3], off
	v_add_nc_u32_e32 v1, s14, v1
	v_add_co_u32 v2, vcc_lo, v2, s11
	v_add_co_ci_u32_e32 v3, vcc_lo, 0, v3, vcc_lo
	s_delay_alu instid0(VALU_DEP_3) | instskip(NEXT) | instid1(VALU_DEP_1)
	v_cmp_le_i32_e64 s2, s16, v1
	s_or_b32 s10, s2, s10
	s_waitcnt vmcnt(0)
	v_lshlrev_b32_e32 v5, 16, v5
	s_delay_alu instid0(VALU_DEP_1)
	v_fmac_f32_e32 v4, v5, v5
	s_and_not1_b32 exec_lo, exec_lo, s10
	s_cbranch_execnz .LBB26_14
; %bb.15:
	s_or_b32 exec_lo, exec_lo, s10
.LBB26_16:
	s_delay_alu instid0(SALU_CYCLE_1)
	s_or_b32 exec_lo, exec_lo, s17
	s_branch .LBB26_23
.LBB26_17:
                                        ; implicit-def: $vgpr4
	s_cbranch_execz .LBB26_23
; %bb.18:
	v_mov_b32_e32 v4, 0
	s_ashr_i32 s11, s3, 3
	s_mov_b32 s10, exec_lo
	v_cmpx_gt_i32_e64 s11, v0
	s_cbranch_execz .LBB26_22
; %bb.19:
	v_dual_mov_b32 v4, 0 :: v_dual_lshlrev_b32 v1, 4, v0
	s_add_u32 s2, s8, s6
	s_addc_u32 s6, s9, s7
	s_add_u32 s2, s4, s2
	s_addc_u32 s4, s5, s6
	v_add_co_u32 v1, s2, s2, v1
	s_delay_alu instid0(VALU_DEP_1) | instskip(SKIP_1) | instid1(VALU_DEP_3)
	v_add_co_ci_u32_e64 v2, null, s4, 0, s2
	v_mov_b32_e32 v3, v0
	v_add_co_u32 v1, vcc_lo, v1, 8
	s_delay_alu instid0(VALU_DEP_3)
	v_add_co_ci_u32_e32 v2, vcc_lo, 0, v2, vcc_lo
	s_mov_b32 s4, 0
	s_lshl_b32 s5, s14, 4
	.p2align	6
.LBB26_20:                              ; =>This Inner Loop Header: Depth=1
	global_load_b128 v[5:8], v[1:2], off offset:-8
	v_add_co_u32 v1, vcc_lo, v1, s5
	v_add_co_ci_u32_e32 v2, vcc_lo, 0, v2, vcc_lo
	v_add_nc_u32_e32 v3, s14, v3
	s_delay_alu instid0(VALU_DEP_1) | instskip(NEXT) | instid1(VALU_DEP_1)
	v_cmp_le_i32_e64 s2, s11, v3
	s_or_b32 s4, s2, s4
	s_waitcnt vmcnt(0)
	v_lshlrev_b32_e32 v9, 16, v5
	v_and_b32_e32 v5, 0xffff0000, v5
	s_delay_alu instid0(VALU_DEP_2) | instskip(NEXT) | instid1(VALU_DEP_1)
	v_dual_fmac_f32 v4, v9, v9 :: v_dual_lshlrev_b32 v9, 16, v6
	v_dual_fmac_f32 v4, v5, v5 :: v_dual_and_b32 v5, 0xffff0000, v6
	v_lshlrev_b32_e32 v6, 16, v7
	s_delay_alu instid0(VALU_DEP_2) | instskip(NEXT) | instid1(VALU_DEP_1)
	v_fmac_f32_e32 v4, v9, v9
	v_dual_fmac_f32 v4, v5, v5 :: v_dual_and_b32 v5, 0xffff0000, v7
	s_delay_alu instid0(VALU_DEP_1) | instskip(SKIP_1) | instid1(VALU_DEP_2)
	v_fmac_f32_e32 v4, v6, v6
	v_lshlrev_b32_e32 v6, 16, v8
	v_dual_fmac_f32 v4, v5, v5 :: v_dual_and_b32 v5, 0xffff0000, v8
	s_delay_alu instid0(VALU_DEP_1) | instskip(NEXT) | instid1(VALU_DEP_1)
	v_fmac_f32_e32 v4, v6, v6
	v_fmac_f32_e32 v4, v5, v5
	s_and_not1_b32 exec_lo, exec_lo, s4
	s_cbranch_execnz .LBB26_20
; %bb.21:
	s_or_b32 exec_lo, exec_lo, s4
.LBB26_22:
	s_delay_alu instid0(SALU_CYCLE_1)
	s_or_b32 exec_lo, exec_lo, s10
.LBB26_23:
	v_mbcnt_lo_u32_b32 v1, -1, 0
	v_and_b32_e32 v3, 0x3e0, v0
	s_mov_b32 s2, exec_lo
	s_delay_alu instid0(VALU_DEP_2) | instskip(NEXT) | instid1(VALU_DEP_2)
	v_cmp_ne_u32_e32 vcc_lo, 31, v1
	v_sub_nc_u32_e64 v12, s14, v3 clamp
	v_add_nc_u32_e32 v3, 1, v1
	v_add_co_ci_u32_e32 v2, vcc_lo, 0, v1, vcc_lo
	v_cmp_gt_u32_e32 vcc_lo, 30, v1
	s_delay_alu instid0(VALU_DEP_2)
	v_lshlrev_b32_e32 v2, 2, v2
	v_cndmask_b32_e64 v6, 0, 1, vcc_lo
	v_cmp_lt_u32_e32 vcc_lo, v3, v12
	ds_bpermute_b32 v5, v2, v4
	s_waitcnt lgkmcnt(0)
	v_dual_add_f32 v7, v4, v5 :: v_dual_lshlrev_b32 v6, 1, v6
	s_delay_alu instid0(VALU_DEP_1) | instskip(NEXT) | instid1(VALU_DEP_2)
	v_cndmask_b32_e32 v7, v4, v7, vcc_lo
	v_add_lshl_u32 v5, v6, v1, 2
	v_cmp_gt_u32_e32 vcc_lo, 28, v1
	ds_bpermute_b32 v6, v5, v7
	v_cndmask_b32_e64 v4, 0, 1, vcc_lo
	s_delay_alu instid0(VALU_DEP_1) | instskip(SKIP_1) | instid1(VALU_DEP_1)
	v_lshlrev_b32_e32 v8, 2, v4
	v_add_nc_u32_e32 v4, 2, v1
	v_cmp_lt_u32_e32 vcc_lo, v4, v12
	s_waitcnt lgkmcnt(0)
	v_add_f32_e32 v9, v7, v6
	v_add_lshl_u32 v6, v8, v1, 2
	s_delay_alu instid0(VALU_DEP_2) | instskip(SKIP_2) | instid1(VALU_DEP_1)
	v_cndmask_b32_e32 v9, v7, v9, vcc_lo
	v_cmp_gt_u32_e32 vcc_lo, 24, v1
	v_cndmask_b32_e64 v7, 0, 1, vcc_lo
	v_lshlrev_b32_e32 v10, 3, v7
	ds_bpermute_b32 v8, v6, v9
	v_add_nc_u32_e32 v7, 4, v1
	s_delay_alu instid0(VALU_DEP_1) | instskip(SKIP_3) | instid1(VALU_DEP_2)
	v_cmp_lt_u32_e32 vcc_lo, v7, v12
	s_waitcnt lgkmcnt(0)
	v_add_f32_e32 v11, v9, v8
	v_add_lshl_u32 v8, v10, v1, 2
	v_cndmask_b32_e32 v11, v9, v11, vcc_lo
	v_cmp_gt_u32_e32 vcc_lo, 16, v1
	ds_bpermute_b32 v10, v8, v11
	v_cndmask_b32_e64 v9, 0, 1, vcc_lo
	s_delay_alu instid0(VALU_DEP_1) | instskip(SKIP_1) | instid1(VALU_DEP_1)
	v_lshlrev_b32_e32 v13, 4, v9
	v_add_nc_u32_e32 v9, 8, v1
	v_cmp_lt_u32_e32 vcc_lo, v9, v12
	s_waitcnt lgkmcnt(0)
	v_add_f32_e32 v14, v11, v10
	v_add_lshl_u32 v10, v13, v1, 2
	s_delay_alu instid0(VALU_DEP_2)
	v_cndmask_b32_e32 v13, v11, v14, vcc_lo
	v_add_nc_u32_e32 v11, 16, v1
	ds_bpermute_b32 v14, v10, v13
	v_cmp_lt_u32_e32 vcc_lo, v11, v12
	s_waitcnt lgkmcnt(0)
	v_add_f32_e32 v14, v13, v14
	s_delay_alu instid0(VALU_DEP_1)
	v_cndmask_b32_e32 v12, v13, v14, vcc_lo
	v_cmpx_eq_u32_e32 0, v1
	s_cbranch_execz .LBB26_25
; %bb.24:
	v_lshrrev_b32_e32 v13, 3, v0
	s_delay_alu instid0(VALU_DEP_1)
	v_and_b32_e32 v13, 0x7c, v13
	ds_store_b32 v13, v12
.LBB26_25:
	s_or_b32 exec_lo, exec_lo, s2
	s_delay_alu instid0(SALU_CYCLE_1)
	s_mov_b32 s2, exec_lo
	s_waitcnt lgkmcnt(0)
	s_barrier
	buffer_gl0_inv
	v_cmpx_gt_u32_e32 32, v0
	s_cbranch_execz .LBB26_27
; %bb.26:
	v_lshlrev_b32_e32 v1, 2, v1
	s_add_i32 s4, s14, 31
	s_delay_alu instid0(SALU_CYCLE_1) | instskip(NEXT) | instid1(SALU_CYCLE_1)
	s_lshr_b32 s4, s4, 5
	v_cmp_gt_u32_e32 vcc_lo, s4, v3
	ds_load_b32 v1, v1
	s_waitcnt lgkmcnt(0)
	ds_bpermute_b32 v2, v2, v1
	s_waitcnt lgkmcnt(0)
	v_add_f32_e32 v2, v1, v2
	s_delay_alu instid0(VALU_DEP_1) | instskip(SKIP_4) | instid1(VALU_DEP_1)
	v_cndmask_b32_e32 v1, v1, v2, vcc_lo
	v_cmp_gt_u32_e32 vcc_lo, s4, v4
	ds_bpermute_b32 v2, v5, v1
	s_waitcnt lgkmcnt(0)
	v_add_f32_e32 v2, v1, v2
	v_cndmask_b32_e32 v1, v1, v2, vcc_lo
	v_cmp_gt_u32_e32 vcc_lo, s4, v7
	ds_bpermute_b32 v2, v6, v1
	s_waitcnt lgkmcnt(0)
	v_add_f32_e32 v2, v1, v2
	s_delay_alu instid0(VALU_DEP_1) | instskip(SKIP_4) | instid1(VALU_DEP_1)
	v_cndmask_b32_e32 v1, v1, v2, vcc_lo
	v_cmp_gt_u32_e32 vcc_lo, s4, v9
	ds_bpermute_b32 v2, v8, v1
	s_waitcnt lgkmcnt(0)
	v_add_f32_e32 v2, v1, v2
	v_cndmask_b32_e32 v1, v1, v2, vcc_lo
	v_cmp_gt_u32_e32 vcc_lo, s4, v11
	ds_bpermute_b32 v2, v10, v1
	s_waitcnt lgkmcnt(0)
	v_add_f32_e32 v2, v1, v2
	s_delay_alu instid0(VALU_DEP_1)
	v_cndmask_b32_e32 v12, v1, v2, vcc_lo
.LBB26_27:
	s_or_b32 exec_lo, exec_lo, s2
	s_delay_alu instid0(SALU_CYCLE_1)
	s_mov_b32 s2, exec_lo
	v_cmpx_eq_u32_e32 0, v0
	s_cbranch_execz .LBB26_29
; %bb.28:
	v_cvt_f32_i32_e32 v1, s3
	s_load_b32 s4, s[0:1], 0x40
	s_delay_alu instid0(VALU_DEP_1) | instskip(SKIP_1) | instid1(VALU_DEP_2)
	v_div_scale_f32 v2, null, v1, v1, v12
	v_div_scale_f32 v5, vcc_lo, v12, v1, v12
	v_rcp_f32_e32 v3, v2
	s_waitcnt_depctr 0xfff
	v_fma_f32 v4, -v2, v3, 1.0
	s_delay_alu instid0(VALU_DEP_1) | instskip(NEXT) | instid1(VALU_DEP_1)
	v_fmac_f32_e32 v3, v4, v3
	v_mul_f32_e32 v4, v5, v3
	s_delay_alu instid0(VALU_DEP_1) | instskip(NEXT) | instid1(VALU_DEP_1)
	v_fma_f32 v6, -v2, v4, v5
	v_fmac_f32_e32 v4, v6, v3
	s_delay_alu instid0(VALU_DEP_1) | instskip(NEXT) | instid1(VALU_DEP_1)
	v_fma_f32 v2, -v2, v4, v5
	v_div_fmas_f32 v2, v2, v3, v4
	s_delay_alu instid0(VALU_DEP_1) | instskip(SKIP_1) | instid1(VALU_DEP_1)
	v_div_fixup_f32 v1, v2, v1, v12
	s_waitcnt lgkmcnt(0)
	v_add_f32_e32 v1, s4, v1
	s_delay_alu instid0(VALU_DEP_1) | instskip(SKIP_1) | instid1(VALU_DEP_2)
	v_mul_f32_e32 v2, 0x4b800000, v1
	v_cmp_gt_f32_e32 vcc_lo, 0x800000, v1
	v_cndmask_b32_e32 v1, v1, v2, vcc_lo
	s_delay_alu instid0(VALU_DEP_1) | instskip(SKIP_2) | instid1(VALU_DEP_1)
	v_rsq_f32_e32 v1, v1
	s_waitcnt_depctr 0xfff
	v_mul_f32_e32 v2, 0x45800000, v1
	v_dual_cndmask_b32 v1, v1, v2 :: v_dual_mov_b32 v2, 0
	ds_store_b32 v2, v1 offset:128
.LBB26_29:
	s_or_b32 exec_lo, exec_lo, s2
	s_ashr_i32 s2, s3, 31
	s_waitcnt lgkmcnt(0)
	s_lshr_b32 s2, s2, 29
	s_barrier
	s_add_i32 s2, s3, s2
	buffer_gl0_inv
	s_ashr_i32 s16, s2, 3
	s_mov_b32 s2, exec_lo
	v_cmpx_gt_i32_e64 s16, v0
	s_cbranch_execz .LBB26_40
; %bb.30:
	v_cvt_f32_u32_e32 v1, s14
	s_clause 0x1
	s_load_b64 s[4:5], s[0:1], 0x0
	s_load_b64 s[8:9], s[0:1], 0x38
	s_mul_i32 s10, s15, s3
	s_mov_b32 s11, 0
	v_rcp_iflag_f32_e32 v1, v1
	s_lshl_b64 s[0:1], s[10:11], 1
	v_add_nc_u32_e32 v3, s14, v0
	s_delay_alu instid0(VALU_DEP_1) | instskip(SKIP_3) | instid1(VALU_DEP_1)
	v_cmp_gt_i32_e32 vcc_lo, s16, v3
	v_max_i32_e32 v4, s16, v3
	s_waitcnt_depctr 0xfff
	v_mul_f32_e32 v1, 0x4f7ffffe, v1
	v_cvt_u32_f32_e32 v1, v1
	s_waitcnt lgkmcnt(0)
	s_add_u32 s10, s4, s0
	s_addc_u32 s15, s5, s1
	s_sub_i32 s0, 0, s14
	s_cmp_lg_u32 s14, 1
	v_mul_lo_u32 v2, s0, v1
	v_add_co_ci_u32_e64 v3, s0, s14, v0, vcc_lo
	s_delay_alu instid0(VALU_DEP_1) | instskip(NEXT) | instid1(VALU_DEP_3)
	v_sub_nc_u32_e32 v3, v4, v3
	v_mul_hi_u32 v2, v1, v2
	s_delay_alu instid0(VALU_DEP_1) | instskip(NEXT) | instid1(VALU_DEP_1)
	v_add_nc_u32_e32 v1, v1, v2
	v_mul_hi_u32 v1, v3, v1
	s_delay_alu instid0(VALU_DEP_1) | instskip(NEXT) | instid1(VALU_DEP_1)
	v_mul_lo_u32 v2, v1, s14
	v_sub_nc_u32_e32 v2, v3, v2
	v_add_nc_u32_e32 v3, 1, v1
	s_delay_alu instid0(VALU_DEP_2) | instskip(SKIP_1) | instid1(VALU_DEP_1)
	v_subrev_nc_u32_e32 v4, s14, v2
	v_cmp_le_u32_e64 s0, s14, v2
	v_cndmask_b32_e64 v1, v1, v3, s0
	s_delay_alu instid0(VALU_DEP_3) | instskip(NEXT) | instid1(VALU_DEP_2)
	v_cndmask_b32_e64 v2, v2, v4, s0
	v_dual_mov_b32 v3, 0 :: v_dual_add_nc_u32 v4, 1, v1
	s_delay_alu instid0(VALU_DEP_2) | instskip(SKIP_3) | instid1(VALU_DEP_1)
	v_cmp_le_u32_e64 s0, s14, v2
	ds_load_b32 v5, v3 offset:128
	v_cndmask_b32_e64 v1, v1, v4, s0
	s_cselect_b32 s0, -1, 0
	v_add_co_ci_u32_e32 v6, vcc_lo, 1, v1, vcc_lo
	s_delay_alu instid0(VALU_DEP_1) | instskip(SKIP_1) | instid1(SALU_CYCLE_1)
	v_cmp_gt_u32_e32 vcc_lo, 2, v6
	s_or_b32 s0, vcc_lo, s0
	s_and_saveexec_b32 s1, s0
	s_delay_alu instid0(SALU_CYCLE_1)
	s_xor_b32 s0, exec_lo, s1
	s_cbranch_execnz .LBB26_34
; %bb.31:
	s_and_not1_saveexec_b32 s17, s0
	s_cbranch_execnz .LBB26_35
.LBB26_32:
	s_or_b32 exec_lo, exec_lo, s17
	s_delay_alu instid0(SALU_CYCLE_1)
	s_and_b32 exec_lo, exec_lo, s11
	s_cbranch_execnz .LBB26_38
	s_branch .LBB26_40
.LBB26_33:
                                        ; implicit-def: $sgpr10_sgpr11
	s_branch .LBB26_2
.LBB26_34:
	s_mov_b32 s11, exec_lo
                                        ; implicit-def: $vgpr6
	s_and_not1_saveexec_b32 s17, s0
	s_cbranch_execz .LBB26_32
.LBB26_35:
	v_dual_mov_b32 v2, 0 :: v_dual_and_b32 v7, -2, v6
	v_add_nc_u32_e32 v1, 1, v0
	s_mov_b32 s18, 0
	s_delay_alu instid0(VALU_DEP_2) | instskip(NEXT) | instid1(VALU_DEP_2)
	v_mov_b32_e32 v8, v7
	v_dual_mov_b32 v4, v1 :: v_dual_mov_b32 v3, v0
.LBB26_36:                              ; =>This Inner Loop Header: Depth=1
	s_delay_alu instid0(VALU_DEP_1) | instskip(NEXT) | instid1(VALU_DEP_1)
	v_dual_mov_b32 v1, v3 :: v_dual_add_nc_u32 v8, -2, v8
	v_lshlrev_b64 v[25:26], 4, v[1:2]
	s_delay_alu instid0(VALU_DEP_1) | instskip(NEXT) | instid1(VALU_DEP_2)
	v_add_co_u32 v9, vcc_lo, s12, v25
	v_add_co_ci_u32_e32 v10, vcc_lo, s13, v26, vcc_lo
	v_add_co_u32 v13, vcc_lo, s8, v25
	v_add_co_ci_u32_e32 v14, vcc_lo, s9, v26, vcc_lo
	v_add_co_u32 v25, s0, s10, v25
	global_load_b128 v[9:12], v[9:10], off
	global_load_b128 v[13:16], v[13:14], off
	v_mov_b32_e32 v1, v4
	v_add_co_ci_u32_e64 v26, s0, s15, v26, s0
	v_add_nc_u32_e32 v4, 2, v4
	s_waitcnt vmcnt(1)
	v_lshlrev_b32_e32 v30, 16, v10
	v_lshlrev_b64 v[27:28], 4, v[1:2]
	v_and_b32_e32 v10, 0xffff0000, v10
	v_lshlrev_b32_e32 v1, 16, v9
	s_waitcnt lgkmcnt(0)
	v_dual_mul_f32 v30, v5, v30 :: v_dual_add_nc_u32 v3, 2, v3
	s_delay_alu instid0(VALU_DEP_4)
	v_add_co_u32 v17, vcc_lo, s12, v27
	v_add_co_ci_u32_e32 v18, vcc_lo, s13, v28, vcc_lo
	v_add_co_u32 v21, vcc_lo, s8, v27
	v_add_co_ci_u32_e32 v22, vcc_lo, s9, v28, vcc_lo
	global_load_b128 v[17:20], v[17:18], off
	global_load_b128 v[21:24], v[21:22], off
	v_mul_f32_e32 v10, v5, v10
	v_mul_f32_e32 v1, v5, v1
	v_bfe_u32 v46, v30, 16, 1
	v_add_co_u32 v27, s0, s10, v27
	s_delay_alu instid0(VALU_DEP_4) | instskip(NEXT) | instid1(VALU_DEP_4)
	v_bfe_u32 v47, v10, 16, 1
	v_bfe_u32 v44, v1, 16, 1
	s_delay_alu instid0(VALU_DEP_4) | instskip(SKIP_1) | instid1(VALU_DEP_4)
	v_add3_u32 v46, v30, v46, 0x7fff
	v_add_co_ci_u32_e64 v28, s0, s15, v28, s0
	v_add3_u32 v47, v10, v47, 0x7fff
	s_delay_alu instid0(VALU_DEP_4) | instskip(NEXT) | instid1(VALU_DEP_4)
	v_add3_u32 v44, v1, v44, 0x7fff
	v_and_b32_e32 v46, 0xffff0000, v46
	v_cmp_o_f32_e64 s1, v30, v30
	v_cmp_o_f32_e64 s2, v10, v10
	v_and_b32_e32 v47, 0xffff0000, v47
	v_and_b32_e32 v44, 0xffff0000, v44
	v_cmp_o_f32_e64 s7, v1, v1
	v_cmp_eq_u32_e32 vcc_lo, 0, v8
	s_or_b32 s18, vcc_lo, s18
	s_waitcnt vmcnt(1)
	v_lshlrev_b32_e32 v42, 16, v20
	v_lshlrev_b32_e32 v35, 16, v16
	;; [unrolled: 1-line block ×3, first 2 shown]
	v_and_b32_e32 v17, 0xffff0000, v17
	v_lshlrev_b32_e32 v32, 16, v11
	v_lshlrev_b32_e32 v38, 16, v18
	v_mul_f32_e32 v42, v5, v42
	v_and_b32_e32 v18, 0xffff0000, v18
	v_and_b32_e32 v11, 0xffff0000, v11
	v_dual_mul_f32 v36, v5, v36 :: v_dual_lshlrev_b32 v31, 16, v14
	v_lshlrev_b32_e32 v40, 16, v19
	s_delay_alu instid0(VALU_DEP_4) | instskip(NEXT) | instid1(VALU_DEP_4)
	v_mul_f32_e32 v18, v5, v18
	v_dual_mul_f32 v11, v5, v11 :: v_dual_lshlrev_b32 v34, 16, v12
	v_and_b32_e32 v9, 0xffff0000, v9
	v_dual_mul_f32 v38, v5, v38 :: v_dual_lshlrev_b32 v33, 16, v15
	s_delay_alu instid0(VALU_DEP_3) | instskip(NEXT) | instid1(VALU_DEP_3)
	v_mul_f32_e32 v34, v5, v34
	v_dual_mul_f32 v9, v5, v9 :: v_dual_and_b32 v14, 0xffff0000, v14
	v_dual_mul_f32 v40, v5, v40 :: v_dual_and_b32 v15, 0xffff0000, v15
	v_and_b32_e32 v19, 0xffff0000, v19
	v_dual_mul_f32 v17, v5, v17 :: v_dual_and_b32 v12, 0xffff0000, v12
	v_dual_mul_f32 v32, v5, v32 :: v_dual_lshlrev_b32 v29, 16, v13
	v_bfe_u32 v45, v9, 16, 1
	s_delay_alu instid0(VALU_DEP_4) | instskip(NEXT) | instid1(VALU_DEP_4)
	v_mul_f32_e32 v19, v5, v19
	v_dual_mul_f32 v12, v5, v12 :: v_dual_and_b32 v13, 0xffff0000, v13
	s_delay_alu instid0(VALU_DEP_4) | instskip(NEXT) | instid1(VALU_DEP_4)
	v_bfe_u32 v48, v32, 16, 1
	v_add3_u32 v45, v9, v45, 0x7fff
	v_bfe_u32 v56, v40, 16, 1
	v_bfe_u32 v53, v17, 16, 1
	;; [unrolled: 1-line block ×5, first 2 shown]
	v_add3_u32 v48, v32, v48, 0x7fff
	v_bfe_u32 v57, v19, 16, 1
	v_and_b32_e32 v45, 0xffff0000, v45
	v_cmp_o_f32_e64 s0, v9, v9
	v_add3_u32 v10, v40, v56, 0x7fff
	v_add3_u32 v51, v12, v51, 0x7fff
	;; [unrolled: 1-line block ×5, first 2 shown]
	v_and_b32_e32 v48, 0xffff0000, v48
	v_cmp_o_f32_e64 s3, v32, v32
	v_add3_u32 v32, v19, v57, 0x7fff
	v_cmp_o_f32_e64 s6, v12, v12
	v_cndmask_b32_e64 v12, 0x7fc00000, v44, s7
	v_cmp_o_f32_e64 s7, v17, v17
	v_cndmask_b32_e64 v17, 0x7fc00000, v45, s0
	;; [unrolled: 2-line block ×4, first 2 shown]
	v_and_b32_e32 v10, 0xffff0000, v10
	v_cmp_o_f32_e64 s2, v40, v40
	v_cndmask_b32_e64 v40, 0x7fc00000, v48, s3
	s_waitcnt vmcnt(0)
	v_lshlrev_b32_e32 v41, 16, v23
	v_and_b32_e32 v32, 0xffff0000, v32
	v_cmp_o_f32_e64 s3, v19, v19
	v_cndmask_b32_e64 v10, 0x7fc00000, v10, s2
	v_dual_mul_f32 v13, v17, v13 :: v_dual_and_b32 v16, 0xffff0000, v16
	v_mul_f32_e32 v17, v38, v31
	v_mul_f32_e32 v14, v18, v14
	v_dual_mul_f32 v18, v40, v33 :: v_dual_and_b32 v23, 0xffff0000, v23
	v_mul_f32_e32 v10, v10, v41
	v_cndmask_b32_e64 v31, 0x7fc00000, v32, s3
	v_and_b32_e32 v20, 0xffff0000, v20
	v_bfe_u32 v49, v11, 16, 1
	v_bfe_u32 v50, v34, 16, 1
	;; [unrolled: 1-line block ×3, first 2 shown]
	v_mul_f32_e32 v23, v31, v23
	v_dual_mul_f32 v20, v5, v20 :: v_dual_lshlrev_b32 v37, 16, v21
	v_add3_u32 v49, v11, v49, 0x7fff
	v_bfe_u32 v58, v42, 16, 1
	v_add3_u32 v50, v34, v50, 0x7fff
	v_add3_u32 v52, v36, v52, 0x7fff
	v_bfe_u32 v59, v20, 16, 1
	v_and_b32_e32 v49, 0xffff0000, v49
	v_cmp_o_f32_e64 s4, v11, v11
	v_add3_u32 v11, v42, v58, 0x7fff
	v_and_b32_e32 v50, 0xffff0000, v50
	v_cmp_o_f32_e64 s5, v34, v34
	v_add3_u32 v34, v20, v59, 0x7fff
	v_and_b32_e32 v51, 0xffff0000, v51
	v_and_b32_e32 v1, 0xffff0000, v52
	;; [unrolled: 1-line block ×5, first 2 shown]
	v_cndmask_b32_e64 v19, 0x7fc00000, v49, s4
	v_and_b32_e32 v11, 0xffff0000, v11
	v_cmp_o_f32_e64 s4, v42, v42
	v_cndmask_b32_e64 v42, 0x7fc00000, v50, s5
	v_and_b32_e32 v34, 0xffff0000, v34
	v_cmp_o_f32_e64 s5, v20, v20
	v_cndmask_b32_e64 v20, 0x7fc00000, v51, s6
	v_cmp_o_f32_e64 s6, v36, v36
	v_and_b32_e32 v21, 0xffff0000, v21
	v_dual_mul_f32 v12, v12, v29 :: v_dual_lshlrev_b32 v39, 16, v22
	v_lshlrev_b32_e32 v43, 16, v24
	s_delay_alu instid0(VALU_DEP_4)
	v_cndmask_b32_e64 v1, 0x7fc00000, v1, s6
	v_and_b32_e32 v22, 0xffff0000, v22
	v_cndmask_b32_e64 v29, 0x7fc00000, v44, s7
	v_cndmask_b32_e64 v9, 0x7fc00000, v9, s0
	;; [unrolled: 1-line block ×3, first 2 shown]
	v_mul_f32_e32 v1, v1, v37
	v_mul_f32_e32 v15, v19, v15
	v_cndmask_b32_e64 v11, 0x7fc00000, v11, s4
	v_dual_mul_f32 v19, v42, v35 :: v_dual_and_b32 v24, 0xffff0000, v24
	v_cndmask_b32_e64 v32, 0x7fc00000, v34, s5
	s_delay_alu instid0(VALU_DEP_3)
	v_dual_mul_f32 v16, v20, v16 :: v_dual_mul_f32 v11, v11, v43
	v_bfe_u32 v20, v12, 16, 1
	v_mul_f32_e32 v21, v29, v21
	v_bfe_u32 v29, v13, 16, 1
	v_mul_f32_e32 v9, v9, v39
	;; [unrolled: 2-line block ×3, first 2 shown]
	v_bfe_u32 v30, v14, 16, 1
	v_bfe_u32 v34, v18, 16, 1
	;; [unrolled: 1-line block ×4, first 2 shown]
	v_mul_f32_e32 v24, v32, v24
	v_bfe_u32 v32, v16, 16, 1
	v_bfe_u32 v36, v1, 16, 1
	v_add3_u32 v20, v12, v20, 0x7fff
	v_bfe_u32 v37, v21, 16, 1
	v_add3_u32 v29, v13, v29, 0x7fff
	;; [unrolled: 2-line block ×8, first 2 shown]
	v_add3_u32 v36, v1, v36, 0x7fff
	v_lshrrev_b32_e32 v20, 16, v20
	v_add3_u32 v37, v21, v37, 0x7fff
	v_lshrrev_b32_e32 v29, 16, v29
	v_cmp_o_f32_e64 s0, v13, v13
	v_add3_u32 v13, v9, v38, 0x7fff
	v_lshrrev_b32_e32 v33, 16, v33
	v_cmp_o_f32_e64 s1, v17, v17
	;; [unrolled: 3-line block ×7, first 2 shown]
	v_cmp_o_f32_e64 s7, v12, v12
	v_lshrrev_b32_e32 v12, 16, v36
	v_lshrrev_b32_e32 v13, 16, v13
	;; [unrolled: 1-line block ×4, first 2 shown]
	v_cndmask_b32_e64 v16, 0x7fc0, v20, s7
	v_lshrrev_b32_e32 v20, 16, v37
	v_cmp_o_f32_e64 s7, v21, v21
	v_cndmask_b32_e64 v21, 0x7fc0, v29, s0
	v_cmp_o_f32_e64 s0, v9, v9
	v_cndmask_b32_e64 v29, 0x7fc0, v33, s1
	v_lshrrev_b32_e32 v9, 16, v17
	v_cmp_o_f32_e64 s1, v22, v22
	v_cndmask_b32_e64 v17, 0x7fc0, v30, s2
	v_cmp_o_f32_e64 s2, v10, v10
	;; [unrolled: 5-line block ×4, first 2 shown]
	v_cndmask_b32_e64 v20, 0x7fc0, v20, s7
	v_cndmask_b32_e64 v24, 0x7fc0, v13, s0
	;; [unrolled: 1-line block ×8, first 2 shown]
	v_perm_b32 v9, v21, v16, 0x5040100
	v_perm_b32 v10, v17, v29, 0x5040100
	;; [unrolled: 1-line block ×8, first 2 shown]
	s_clause 0x1
	global_store_b128 v[25:26], v[9:12], off
	global_store_b128 v[27:28], v[13:16], off
	s_and_not1_b32 exec_lo, exec_lo, s18
	s_cbranch_execnz .LBB26_36
; %bb.37:
	s_or_b32 exec_lo, exec_lo, s18
	v_cmp_ne_u32_e32 vcc_lo, v6, v7
	v_add_nc_u32_e32 v0, v0, v7
	s_and_not1_b32 s0, s11, exec_lo
	s_and_b32 s1, vcc_lo, exec_lo
	s_delay_alu instid0(SALU_CYCLE_1) | instskip(SKIP_1) | instid1(SALU_CYCLE_1)
	s_or_b32 s11, s0, s1
	s_or_b32 exec_lo, exec_lo, s17
	s_and_b32 exec_lo, exec_lo, s11
	s_cbranch_execz .LBB26_40
.LBB26_38:
	v_mov_b32_e32 v1, 0
	s_waitcnt lgkmcnt(0)
	v_mov_b32_e32 v3, v5
	s_mov_b32 s7, 0
	s_lshl_b32 s11, s14, 4
	v_lshlrev_b64 v[1:2], 4, v[0:1]
.LBB26_39:                              ; =>This Inner Loop Header: Depth=1
	s_delay_alu instid0(VALU_DEP_1) | instskip(NEXT) | instid1(VALU_DEP_2)
	v_add_co_u32 v6, vcc_lo, s12, v1
	v_add_co_ci_u32_e32 v7, vcc_lo, s13, v2, vcc_lo
	v_add_co_u32 v10, vcc_lo, s8, v1
	v_add_co_ci_u32_e32 v11, vcc_lo, s9, v2, vcc_lo
	v_add_co_u32 v14, vcc_lo, s10, v1
	global_load_b128 v[6:9], v[6:7], off
	global_load_b128 v[10:13], v[10:11], off
	v_add_co_ci_u32_e32 v15, vcc_lo, s15, v2, vcc_lo
	s_add_u32 s10, s10, s11
	s_addc_u32 s15, s15, 0
	s_add_u32 s12, s12, s11
	s_addc_u32 s13, s13, 0
	;; [unrolled: 2-line block ×3, first 2 shown]
	s_waitcnt vmcnt(1)
	v_lshlrev_b32_e32 v17, 16, v7
	v_lshlrev_b32_e32 v4, 16, v6
	;; [unrolled: 1-line block ×3, first 2 shown]
	v_and_b32_e32 v6, 0xffff0000, v6
	v_and_b32_e32 v8, 0xffff0000, v8
	s_waitcnt vmcnt(0)
	s_delay_alu instid0(VALU_DEP_3) | instskip(NEXT) | instid1(VALU_DEP_3)
	v_dual_mul_f32 v19, v5, v19 :: v_dual_and_b32 v20, 0xffff0000, v12
	v_dual_mul_f32 v6, v3, v6 :: v_dual_mul_f32 v17, v5, v17
	v_dual_mul_f32 v4, v5, v4 :: v_dual_and_b32 v7, 0xffff0000, v7
	v_add_nc_u32_e32 v0, s14, v0
	s_delay_alu instid0(VALU_DEP_3) | instskip(SKIP_1) | instid1(VALU_DEP_4)
	v_bfe_u32 v24, v6, 16, 1
	v_cmp_o_f32_e64 s6, v6, v6
	v_mul_f32_e32 v7, v3, v7
	v_bfe_u32 v23, v4, 16, 1
	v_cmp_o_f32_e32 vcc_lo, v4, v4
	v_add3_u32 v24, v6, v24, 0x7fff
	v_bfe_u32 v25, v17, 16, 1
	v_bfe_u32 v26, v7, 16, 1
	v_add3_u32 v23, v4, v23, 0x7fff
	v_bfe_u32 v27, v19, 16, 1
	v_and_b32_e32 v24, 0xffff0000, v24
	v_add3_u32 v25, v17, v25, 0x7fff
	v_add3_u32 v26, v7, v26, 0x7fff
	v_and_b32_e32 v23, 0xffff0000, v23
	v_lshlrev_b32_e32 v12, 16, v12
	v_cndmask_b32_e64 v6, 0x7fc00000, v24, s6
	v_lshlrev_b32_e32 v21, 16, v9
	v_and_b32_e32 v9, 0xffff0000, v9
	v_and_b32_e32 v16, 0xffff0000, v10
	v_add3_u32 v27, v19, v27, 0x7fff
	v_cmp_o_f32_e64 s1, v17, v17
	v_cmp_o_f32_e64 s0, v7, v7
	s_delay_alu instid0(VALU_DEP_4) | instskip(SKIP_2) | instid1(VALU_DEP_3)
	v_dual_mul_f32 v9, v3, v9 :: v_dual_mul_f32 v6, v6, v16
	v_dual_mul_f32 v21, v5, v21 :: v_dual_lshlrev_b32 v10, 16, v10
	v_mul_f32_e32 v8, v3, v8
	v_bfe_u32 v30, v9, 16, 1
	v_cmp_o_f32_e64 s4, v9, v9
	v_and_b32_e32 v7, 0xffff0000, v27
	v_bfe_u32 v29, v21, 16, 1
	v_bfe_u32 v28, v8, 16, 1
	v_add3_u32 v30, v9, v30, 0x7fff
	v_cndmask_b32_e32 v9, 0x7fc00000, v23, vcc_lo
	v_and_b32_e32 v18, 0xffff0000, v11
	v_lshlrev_b32_e32 v11, 16, v11
	v_add3_u32 v28, v8, v28, 0x7fff
	v_add3_u32 v29, v21, v29, 0x7fff
	v_cmp_o_f32_e64 s2, v8, v8
	v_cmp_o_f32_e64 s3, v19, v19
	v_and_b32_e32 v19, 0xffff0000, v30
	v_and_b32_e32 v17, 0xffff0000, v28
	v_and_b32_e32 v8, 0xffff0000, v29
	v_cmp_o_f32_e64 s5, v21, v21
	v_cndmask_b32_e64 v7, 0x7fc00000, v7, s3
	v_and_b32_e32 v22, 0xffff0000, v13
	v_cndmask_b32_e64 v17, 0x7fc00000, v17, s2
	v_and_b32_e32 v4, 0xffff0000, v25
	v_and_b32_e32 v25, 0xffff0000, v26
	v_cndmask_b32_e64 v19, 0x7fc00000, v19, s4
	v_lshlrev_b32_e32 v13, 16, v13
	v_cndmask_b32_e64 v8, 0x7fc00000, v8, s5
	v_cndmask_b32_e64 v4, 0x7fc00000, v4, s1
	;; [unrolled: 1-line block ×3, first 2 shown]
	v_mul_f32_e32 v9, v9, v10
	v_mul_f32_e32 v7, v7, v12
	;; [unrolled: 1-line block ×5, first 2 shown]
	v_dual_mul_f32 v11, v17, v20 :: v_dual_mul_f32 v8, v8, v13
	v_bfe_u32 v13, v6, 16, 1
	v_bfe_u32 v16, v9, 16, 1
	s_delay_alu instid0(VALU_DEP_4)
	v_bfe_u32 v17, v10, 16, 1
	v_bfe_u32 v18, v4, 16, 1
	;; [unrolled: 1-line block ×6, first 2 shown]
	v_add3_u32 v16, v9, v16, 0x7fff
	v_add3_u32 v13, v6, v13, 0x7fff
	;; [unrolled: 1-line block ×8, first 2 shown]
	v_lshrrev_b32_e32 v13, 16, v13
	v_lshrrev_b32_e32 v16, 16, v16
	v_cmp_o_f32_e32 vcc_lo, v9, v9
	v_lshrrev_b32_e32 v9, 16, v17
	v_lshrrev_b32_e32 v17, 16, v18
	v_cmp_o_f32_e64 s0, v10, v10
	v_cmp_o_f32_e64 s1, v4, v4
	v_lshrrev_b32_e32 v4, 16, v19
	v_lshrrev_b32_e32 v10, 16, v20
	v_cmp_o_f32_e64 s2, v11, v11
	v_cmp_o_f32_e64 s3, v7, v7
	;; [unrolled: 4-line block ×3, first 2 shown]
	v_cmp_o_f32_e64 s6, v6, v6
	v_cndmask_b32_e64 v12, 0x7fc0, v9, s0
	v_cndmask_b32_e64 v4, 0x7fc0, v4, s2
	;; [unrolled: 1-line block ×7, first 2 shown]
	v_cndmask_b32_e32 v13, 0x7fc0, v16, vcc_lo
	v_cmp_le_i32_e32 vcc_lo, s16, v0
	v_perm_b32 v9, v7, v8, 0x5040100
	v_perm_b32 v8, v4, v10, 0x5040100
	;; [unrolled: 1-line block ×4, first 2 shown]
	s_or_b32 s7, vcc_lo, s7
	global_store_b128 v[14:15], v[6:9], off
	s_and_not1_b32 exec_lo, exec_lo, s7
	s_cbranch_execnz .LBB26_39
.LBB26_40:
	s_nop 0
	s_sendmsg sendmsg(MSG_DEALLOC_VGPRS)
	s_endpgm
	.section	.rodata,"a",@progbits
	.p2align	6, 0x0
	.amdhsa_kernel _ZN4vllm15rms_norm_kernelIN3c108BFloat16ELi8ELi3EEEvPT_PKS3_lllllS6_fii
		.amdhsa_group_segment_fixed_size 132
		.amdhsa_private_segment_fixed_size 0
		.amdhsa_kernarg_size 336
		.amdhsa_user_sgpr_count 15
		.amdhsa_user_sgpr_dispatch_ptr 0
		.amdhsa_user_sgpr_queue_ptr 0
		.amdhsa_user_sgpr_kernarg_segment_ptr 1
		.amdhsa_user_sgpr_dispatch_id 0
		.amdhsa_user_sgpr_private_segment_size 0
		.amdhsa_wavefront_size32 1
		.amdhsa_uses_dynamic_stack 0
		.amdhsa_enable_private_segment 0
		.amdhsa_system_sgpr_workgroup_id_x 1
		.amdhsa_system_sgpr_workgroup_id_y 0
		.amdhsa_system_sgpr_workgroup_id_z 0
		.amdhsa_system_sgpr_workgroup_info 0
		.amdhsa_system_vgpr_workitem_id 0
		.amdhsa_next_free_vgpr 60
		.amdhsa_next_free_sgpr 22
		.amdhsa_reserve_vcc 1
		.amdhsa_float_round_mode_32 0
		.amdhsa_float_round_mode_16_64 0
		.amdhsa_float_denorm_mode_32 3
		.amdhsa_float_denorm_mode_16_64 3
		.amdhsa_dx10_clamp 1
		.amdhsa_ieee_mode 1
		.amdhsa_fp16_overflow 0
		.amdhsa_workgroup_processor_mode 1
		.amdhsa_memory_ordered 1
		.amdhsa_forward_progress 0
		.amdhsa_shared_vgpr_count 0
		.amdhsa_exception_fp_ieee_invalid_op 0
		.amdhsa_exception_fp_denorm_src 0
		.amdhsa_exception_fp_ieee_div_zero 0
		.amdhsa_exception_fp_ieee_overflow 0
		.amdhsa_exception_fp_ieee_underflow 0
		.amdhsa_exception_fp_ieee_inexact 0
		.amdhsa_exception_int_div_zero 0
	.end_amdhsa_kernel
	.section	.text._ZN4vllm15rms_norm_kernelIN3c108BFloat16ELi8ELi3EEEvPT_PKS3_lllllS6_fii,"axG",@progbits,_ZN4vllm15rms_norm_kernelIN3c108BFloat16ELi8ELi3EEEvPT_PKS3_lllllS6_fii,comdat
.Lfunc_end26:
	.size	_ZN4vllm15rms_norm_kernelIN3c108BFloat16ELi8ELi3EEEvPT_PKS3_lllllS6_fii, .Lfunc_end26-_ZN4vllm15rms_norm_kernelIN3c108BFloat16ELi8ELi3EEEvPT_PKS3_lllllS6_fii
                                        ; -- End function
	.section	.AMDGPU.csdata,"",@progbits
; Kernel info:
; codeLenInByte = 6212
; NumSgprs: 24
; NumVgprs: 60
; ScratchSize: 0
; MemoryBound: 0
; FloatMode: 240
; IeeeMode: 1
; LDSByteSize: 132 bytes/workgroup (compile time only)
; SGPRBlocks: 2
; VGPRBlocks: 7
; NumSGPRsForWavesPerEU: 24
; NumVGPRsForWavesPerEU: 60
; Occupancy: 16
; WaveLimiterHint : 0
; COMPUTE_PGM_RSRC2:SCRATCH_EN: 0
; COMPUTE_PGM_RSRC2:USER_SGPR: 15
; COMPUTE_PGM_RSRC2:TRAP_HANDLER: 0
; COMPUTE_PGM_RSRC2:TGID_X_EN: 1
; COMPUTE_PGM_RSRC2:TGID_Y_EN: 0
; COMPUTE_PGM_RSRC2:TGID_Z_EN: 0
; COMPUTE_PGM_RSRC2:TIDIG_COMP_CNT: 0
	.section	.text._ZN4vllm15rms_norm_kernelIN3c108BFloat16ELi4ELi3EEEvPT_PKS3_lllllS6_fii,"axG",@progbits,_ZN4vllm15rms_norm_kernelIN3c108BFloat16ELi4ELi3EEEvPT_PKS3_lllllS6_fii,comdat
	.protected	_ZN4vllm15rms_norm_kernelIN3c108BFloat16ELi4ELi3EEEvPT_PKS3_lllllS6_fii ; -- Begin function _ZN4vllm15rms_norm_kernelIN3c108BFloat16ELi4ELi3EEEvPT_PKS3_lllllS6_fii
	.globl	_ZN4vllm15rms_norm_kernelIN3c108BFloat16ELi4ELi3EEEvPT_PKS3_lllllS6_fii
	.p2align	8
	.type	_ZN4vllm15rms_norm_kernelIN3c108BFloat16ELi4ELi3EEEvPT_PKS3_lllllS6_fii,@function
_ZN4vllm15rms_norm_kernelIN3c108BFloat16ELi4ELi3EEEvPT_PKS3_lllllS6_fii: ; @_ZN4vllm15rms_norm_kernelIN3c108BFloat16ELi4ELi3EEEvPT_PKS3_lllllS6_fii
; %bb.0:
	s_clause 0x1
	s_load_b64 s[2:3], s[0:1], 0x28
	s_load_b64 s[4:5], s[0:1], 0x8
	s_mov_b32 s6, 0
	s_waitcnt lgkmcnt(0)
	s_mov_b32 s7, s3
	s_delay_alu instid0(SALU_CYCLE_1)
	s_cmp_lg_u64 s[6:7], 0
	s_cbranch_scc0 .LBB27_33
; %bb.1:
	s_ashr_i32 s8, s3, 31
	s_delay_alu instid0(SALU_CYCLE_1) | instskip(SKIP_2) | instid1(SALU_CYCLE_1)
	s_add_u32 s10, s2, s8
	s_mov_b32 s9, s8
	s_addc_u32 s11, s3, s8
	s_xor_b64 s[10:11], s[10:11], s[8:9]
	s_delay_alu instid0(SALU_CYCLE_1) | instskip(SKIP_3) | instid1(VALU_DEP_1)
	v_cvt_f32_u32_e32 v1, s10
	v_cvt_f32_u32_e32 v2, s11
	s_sub_u32 s12, 0, s10
	s_subb_u32 s13, 0, s11
	v_fmamk_f32 v1, v2, 0x4f800000, v1
	s_delay_alu instid0(VALU_DEP_1) | instskip(SKIP_2) | instid1(VALU_DEP_1)
	v_rcp_f32_e32 v1, v1
	s_waitcnt_depctr 0xfff
	v_mul_f32_e32 v1, 0x5f7ffffc, v1
	v_mul_f32_e32 v2, 0x2f800000, v1
	s_delay_alu instid0(VALU_DEP_1) | instskip(NEXT) | instid1(VALU_DEP_1)
	v_trunc_f32_e32 v2, v2
	v_fmamk_f32 v1, v2, 0xcf800000, v1
	v_cvt_u32_f32_e32 v2, v2
	s_delay_alu instid0(VALU_DEP_2) | instskip(NEXT) | instid1(VALU_DEP_2)
	v_cvt_u32_f32_e32 v1, v1
	v_readfirstlane_b32 s3, v2
	s_delay_alu instid0(VALU_DEP_2) | instskip(NEXT) | instid1(VALU_DEP_2)
	v_readfirstlane_b32 s7, v1
	s_mul_i32 s14, s12, s3
	s_delay_alu instid0(VALU_DEP_1)
	s_mul_hi_u32 s17, s12, s7
	s_mul_i32 s16, s13, s7
	s_add_i32 s14, s17, s14
	s_mul_i32 s18, s12, s7
	s_add_i32 s14, s14, s16
	s_mul_hi_u32 s17, s7, s18
	s_mul_hi_u32 s19, s3, s18
	s_mul_i32 s16, s3, s18
	s_mul_hi_u32 s18, s7, s14
	s_mul_i32 s7, s7, s14
	s_mul_hi_u32 s20, s3, s14
	s_add_u32 s7, s17, s7
	s_addc_u32 s17, 0, s18
	s_add_u32 s7, s7, s16
	s_mul_i32 s14, s3, s14
	s_addc_u32 s7, s17, s19
	s_addc_u32 s16, s20, 0
	s_add_u32 s7, s7, s14
	s_addc_u32 s14, 0, s16
	v_add_co_u32 v1, s7, v1, s7
	s_delay_alu instid0(VALU_DEP_1) | instskip(SKIP_1) | instid1(VALU_DEP_1)
	s_cmp_lg_u32 s7, 0
	s_addc_u32 s3, s3, s14
	v_readfirstlane_b32 s7, v1
	s_mul_i32 s14, s12, s3
	s_delay_alu instid0(VALU_DEP_1)
	s_mul_hi_u32 s16, s12, s7
	s_mul_i32 s13, s13, s7
	s_add_i32 s14, s16, s14
	s_mul_i32 s12, s12, s7
	s_add_i32 s14, s14, s13
	s_mul_hi_u32 s16, s3, s12
	s_mul_i32 s17, s3, s12
	s_mul_hi_u32 s12, s7, s12
	s_mul_hi_u32 s18, s7, s14
	s_mul_i32 s7, s7, s14
	s_mul_hi_u32 s13, s3, s14
	s_add_u32 s7, s12, s7
	s_addc_u32 s12, 0, s18
	s_add_u32 s7, s7, s17
	s_mul_i32 s14, s3, s14
	s_addc_u32 s7, s12, s16
	s_addc_u32 s12, s13, 0
	s_add_u32 s7, s7, s14
	s_addc_u32 s12, 0, s12
	v_add_co_u32 v1, s7, v1, s7
	s_delay_alu instid0(VALU_DEP_1) | instskip(SKIP_1) | instid1(VALU_DEP_1)
	s_cmp_lg_u32 s7, 0
	s_addc_u32 s3, s3, s12
	v_readfirstlane_b32 s7, v1
	s_mul_i32 s12, s15, s3
	s_mul_hi_u32 s3, s15, s3
	s_delay_alu instid0(VALU_DEP_1) | instskip(NEXT) | instid1(SALU_CYCLE_1)
	s_mul_hi_u32 s7, s15, s7
	s_add_u32 s7, s7, s12
	s_addc_u32 s3, 0, s3
	s_add_u32 s7, s7, 0
	s_addc_u32 s3, s3, 0
	s_addc_u32 s7, 0, 0
	s_add_u32 s3, s3, 0
	s_addc_u32 s7, 0, s7
	s_mul_hi_u32 s12, s10, s3
	s_mul_i32 s14, s10, s7
	s_mul_i32 s16, s10, s3
	s_add_i32 s12, s12, s14
	v_sub_co_u32 v1, s14, s15, s16
	s_mul_i32 s13, s11, s3
	s_delay_alu instid0(SALU_CYCLE_1) | instskip(NEXT) | instid1(VALU_DEP_1)
	s_add_i32 s12, s12, s13
	v_sub_co_u32 v2, s16, v1, s10
	s_sub_i32 s13, 0, s12
	s_cmp_lg_u32 s14, 0
	s_subb_u32 s13, s13, s11
	s_cmp_lg_u32 s16, 0
	v_readfirstlane_b32 s16, v2
	s_subb_u32 s13, s13, 0
	s_delay_alu instid0(SALU_CYCLE_1) | instskip(SKIP_1) | instid1(VALU_DEP_1)
	s_cmp_ge_u32 s13, s11
	s_cselect_b32 s17, -1, 0
	s_cmp_ge_u32 s16, s10
	s_cselect_b32 s16, -1, 0
	s_cmp_eq_u32 s13, s11
	s_cselect_b32 s13, s16, s17
	s_add_u32 s16, s3, 1
	s_addc_u32 s17, s7, 0
	s_add_u32 s18, s3, 2
	s_addc_u32 s19, s7, 0
	s_cmp_lg_u32 s13, 0
	s_cselect_b32 s13, s18, s16
	s_cselect_b32 s16, s19, s17
	s_cmp_lg_u32 s14, 0
	v_readfirstlane_b32 s14, v1
	s_subb_u32 s12, 0, s12
	s_delay_alu instid0(SALU_CYCLE_1) | instskip(SKIP_1) | instid1(VALU_DEP_1)
	s_cmp_ge_u32 s12, s11
	s_cselect_b32 s17, -1, 0
	s_cmp_ge_u32 s14, s10
	s_cselect_b32 s10, -1, 0
	s_cmp_eq_u32 s12, s11
	s_cselect_b32 s10, s10, s17
	s_delay_alu instid0(SALU_CYCLE_1) | instskip(SKIP_2) | instid1(SALU_CYCLE_1)
	s_cmp_lg_u32 s10, 0
	s_cselect_b32 s11, s16, s7
	s_cselect_b32 s10, s13, s3
	s_xor_b64 s[10:11], s[10:11], s[8:9]
	s_delay_alu instid0(SALU_CYCLE_1)
	s_sub_u32 s10, s10, s8
	s_subb_u32 s11, s11, s8
	s_and_not1_b32 vcc_lo, exec_lo, s6
	s_cbranch_vccnz .LBB27_3
.LBB27_2:
	v_cvt_f32_u32_e32 v1, s2
	s_sub_i32 s6, 0, s2
	s_mov_b32 s11, 0
	s_delay_alu instid0(VALU_DEP_1) | instskip(SKIP_2) | instid1(VALU_DEP_1)
	v_rcp_iflag_f32_e32 v1, v1
	s_waitcnt_depctr 0xfff
	v_mul_f32_e32 v1, 0x4f7ffffe, v1
	v_cvt_u32_f32_e32 v1, v1
	s_delay_alu instid0(VALU_DEP_1) | instskip(NEXT) | instid1(VALU_DEP_1)
	v_readfirstlane_b32 s3, v1
	s_mul_i32 s6, s6, s3
	s_delay_alu instid0(SALU_CYCLE_1) | instskip(NEXT) | instid1(SALU_CYCLE_1)
	s_mul_hi_u32 s6, s3, s6
	s_add_i32 s3, s3, s6
	s_delay_alu instid0(SALU_CYCLE_1) | instskip(NEXT) | instid1(SALU_CYCLE_1)
	s_mul_hi_u32 s3, s15, s3
	s_mul_i32 s6, s3, s2
	s_add_i32 s7, s3, 1
	s_sub_i32 s6, s15, s6
	s_delay_alu instid0(SALU_CYCLE_1)
	s_sub_i32 s8, s6, s2
	s_cmp_ge_u32 s6, s2
	s_cselect_b32 s3, s7, s3
	s_cselect_b32 s6, s8, s6
	s_add_i32 s7, s3, 1
	s_cmp_ge_u32 s6, s2
	s_cselect_b32 s10, s7, s3
.LBB27_3:
	s_load_b128 s[20:23], s[0:1], 0x10
	s_mul_i32 s6, s10, s2
	s_bfe_i64 s[2:3], s[10:11], 0x200000
	s_clause 0x1
	s_load_b32 s16, s[0:1], 0x48
	s_load_b32 s11, s[0:1], 0x5c
	s_sub_i32 s8, s15, s6
	s_waitcnt lgkmcnt(0)
	s_mul_i32 s2, s10, s23
	s_mul_hi_u32 s6, s10, s22
	s_mul_i32 s3, s3, s22
	s_add_i32 s6, s6, s2
	s_mul_i32 s2, s10, s22
	s_add_i32 s3, s6, s3
	s_mul_i32 s9, s8, s21
	s_lshl_b64 s[6:7], s[2:3], 1
	s_mul_hi_u32 s2, s8, s20
	s_add_u32 s10, s4, s6
	s_addc_u32 s13, s5, s7
	s_ashr_i32 s3, s8, 31
	s_add_i32 s9, s2, s9
	s_mul_i32 s3, s3, s20
	s_mul_i32 s2, s8, s20
	s_add_i32 s3, s9, s3
	s_delay_alu instid0(SALU_CYCLE_1)
	s_lshl_b64 s[8:9], s[2:3], 1
	s_mov_b32 s3, 0
	s_add_u32 s12, s10, s8
	s_addc_u32 s13, s13, s9
	s_and_b32 s2, s12, 7
	s_and_b32 s14, s11, 0xffff
	s_cmp_lg_u64 s[2:3], 0
	s_cselect_b32 s2, -1, 0
	s_and_b32 s3, s16, 3
	s_delay_alu instid0(SALU_CYCLE_1) | instskip(SKIP_1) | instid1(SALU_CYCLE_1)
	s_cmp_lg_u32 s3, 0
	s_cselect_b32 s3, -1, 0
	s_or_b32 s2, s3, s2
	s_delay_alu instid0(SALU_CYCLE_1)
	s_and_b32 vcc_lo, exec_lo, s2
	s_cbranch_vccz .LBB27_17
; %bb.4:
	s_sub_i32 s2, 0, s12
	v_mov_b32_e32 v4, 0
	s_bfe_u32 s2, s2, 0x20001
	s_mov_b32 s3, exec_lo
	s_min_i32 s10, s2, s16
	s_delay_alu instid0(SALU_CYCLE_1)
	v_cmpx_gt_i32_e64 s10, v0
	s_cbranch_execz .LBB27_8
; %bb.5:
	v_dual_mov_b32 v4, 0 :: v_dual_lshlrev_b32 v1, 1, v0
	s_add_u32 s2, s8, s6
	s_addc_u32 s11, s9, s7
	s_add_u32 s2, s4, s2
	s_addc_u32 s11, s5, s11
	v_add_co_u32 v1, s2, s2, v1
	s_delay_alu instid0(VALU_DEP_1)
	v_add_co_ci_u32_e64 v2, null, s11, 0, s2
	v_mov_b32_e32 v3, v0
	s_mov_b32 s11, 0
	s_lshl_b32 s17, s14, 1
.LBB27_6:                               ; =>This Inner Loop Header: Depth=1
	global_load_u16 v5, v[1:2], off
	v_add_co_u32 v1, vcc_lo, v1, s17
	v_add_co_ci_u32_e32 v2, vcc_lo, 0, v2, vcc_lo
	s_waitcnt vmcnt(0)
	v_lshlrev_b32_e32 v5, 16, v5
	s_delay_alu instid0(VALU_DEP_1) | instskip(NEXT) | instid1(VALU_DEP_1)
	v_dual_fmac_f32 v4, v5, v5 :: v_dual_add_nc_u32 v3, s14, v3
	v_cmp_le_i32_e64 s2, s10, v3
	s_delay_alu instid0(VALU_DEP_1) | instskip(NEXT) | instid1(SALU_CYCLE_1)
	s_or_b32 s11, s2, s11
	s_and_not1_b32 exec_lo, exec_lo, s11
	s_cbranch_execnz .LBB27_6
; %bb.7:
	s_or_b32 exec_lo, exec_lo, s11
.LBB27_8:
	s_delay_alu instid0(SALU_CYCLE_1)
	s_or_b32 exec_lo, exec_lo, s3
	s_sub_i32 s3, s16, s10
	s_ashr_i32 s11, s10, 31
	s_ashr_i32 s2, s3, 31
	s_mov_b32 s18, exec_lo
	s_lshr_b32 s2, s2, 30
	s_delay_alu instid0(SALU_CYCLE_1) | instskip(NEXT) | instid1(SALU_CYCLE_1)
	s_add_i32 s2, s3, s2
	s_ashr_i32 s17, s2, 2
	s_delay_alu instid0(SALU_CYCLE_1)
	v_cmpx_gt_i32_e64 s17, v0
	s_cbranch_execz .LBB27_12
; %bb.9:
	s_add_u32 s2, s8, s6
	s_addc_u32 s19, s9, s7
	s_lshl_b64 s[20:21], s[10:11], 1
	v_lshlrev_b32_e32 v1, 3, v0
	s_add_u32 s20, s4, s20
	s_addc_u32 s21, s5, s21
	s_add_u32 s2, s20, s2
	s_addc_u32 s19, s21, s19
	v_add_co_u32 v1, s2, s2, v1
	s_delay_alu instid0(VALU_DEP_1) | instskip(SKIP_1) | instid1(VALU_DEP_3)
	v_add_co_ci_u32_e64 v2, null, s19, 0, s2
	v_mov_b32_e32 v3, v0
	v_add_co_u32 v1, vcc_lo, v1, 4
	s_delay_alu instid0(VALU_DEP_3)
	v_add_co_ci_u32_e32 v2, vcc_lo, 0, v2, vcc_lo
	s_mov_b32 s19, 0
	s_lshl_b32 s20, s14, 3
	.p2align	6
.LBB27_10:                              ; =>This Inner Loop Header: Depth=1
	global_load_b64 v[5:6], v[1:2], off offset:-4
	v_add_co_u32 v1, vcc_lo, v1, s20
	v_add_co_ci_u32_e32 v2, vcc_lo, 0, v2, vcc_lo
	s_waitcnt vmcnt(0)
	v_lshlrev_b32_e32 v7, 16, v5
	s_delay_alu instid0(VALU_DEP_1) | instskip(NEXT) | instid1(VALU_DEP_1)
	v_dual_fmac_f32 v4, v7, v7 :: v_dual_and_b32 v5, 0xffff0000, v5
	v_dual_fmac_f32 v4, v5, v5 :: v_dual_lshlrev_b32 v7, 16, v6
	s_delay_alu instid0(VALU_DEP_1) | instskip(NEXT) | instid1(VALU_DEP_1)
	v_dual_fmac_f32 v4, v7, v7 :: v_dual_and_b32 v5, 0xffff0000, v6
	v_dual_fmac_f32 v4, v5, v5 :: v_dual_add_nc_u32 v3, s14, v3
	s_delay_alu instid0(VALU_DEP_1) | instskip(NEXT) | instid1(VALU_DEP_1)
	v_cmp_le_i32_e64 s2, s17, v3
	s_or_b32 s19, s2, s19
	s_delay_alu instid0(SALU_CYCLE_1)
	s_and_not1_b32 exec_lo, exec_lo, s19
	s_cbranch_execnz .LBB27_10
; %bb.11:
	s_or_b32 exec_lo, exec_lo, s19
.LBB27_12:
	s_delay_alu instid0(SALU_CYCLE_1) | instskip(SKIP_2) | instid1(VALU_DEP_1)
	s_or_b32 exec_lo, exec_lo, s18
	v_lshl_add_u32 v1, s17, 2, v0
	s_mov_b32 s17, exec_lo
	v_cmpx_gt_i32_e64 s3, v1
	s_cbranch_execz .LBB27_16
; %bb.13:
	v_ashrrev_i32_e32 v2, 31, v1
	s_add_u32 s2, s8, s6
	s_addc_u32 s18, s9, s7
	s_lshl_b64 s[10:11], s[10:11], 1
	s_delay_alu instid0(SALU_CYCLE_1)
	s_add_u32 s2, s2, s10
	v_lshlrev_b64 v[2:3], 1, v[1:2]
	s_addc_u32 s10, s18, s11
	s_add_u32 s2, s4, s2
	s_addc_u32 s10, s5, s10
	s_lshl_b32 s11, s14, 1
	s_delay_alu instid0(VALU_DEP_1)
	v_add_co_u32 v2, vcc_lo, s2, v2
	v_add_co_ci_u32_e32 v3, vcc_lo, s10, v3, vcc_lo
	s_mov_b32 s10, 0
.LBB27_14:                              ; =>This Inner Loop Header: Depth=1
	global_load_u16 v5, v[2:3], off
	v_add_nc_u32_e32 v1, s14, v1
	v_add_co_u32 v2, vcc_lo, v2, s11
	v_add_co_ci_u32_e32 v3, vcc_lo, 0, v3, vcc_lo
	s_delay_alu instid0(VALU_DEP_3) | instskip(NEXT) | instid1(VALU_DEP_1)
	v_cmp_le_i32_e64 s2, s3, v1
	s_or_b32 s10, s2, s10
	s_waitcnt vmcnt(0)
	v_lshlrev_b32_e32 v5, 16, v5
	s_delay_alu instid0(VALU_DEP_1)
	v_fmac_f32_e32 v4, v5, v5
	s_and_not1_b32 exec_lo, exec_lo, s10
	s_cbranch_execnz .LBB27_14
; %bb.15:
	s_or_b32 exec_lo, exec_lo, s10
.LBB27_16:
	s_delay_alu instid0(SALU_CYCLE_1)
	s_or_b32 exec_lo, exec_lo, s17
	s_branch .LBB27_23
.LBB27_17:
                                        ; implicit-def: $vgpr4
	s_cbranch_execz .LBB27_23
; %bb.18:
	v_mov_b32_e32 v4, 0
	s_ashr_i32 s10, s16, 2
	s_mov_b32 s3, exec_lo
	v_cmpx_gt_i32_e64 s10, v0
	s_cbranch_execz .LBB27_22
; %bb.19:
	v_dual_mov_b32 v4, 0 :: v_dual_lshlrev_b32 v1, 3, v0
	s_add_u32 s2, s8, s6
	s_addc_u32 s6, s9, s7
	s_add_u32 s2, s4, s2
	s_addc_u32 s4, s5, s6
	v_add_co_u32 v1, s2, s2, v1
	s_delay_alu instid0(VALU_DEP_1)
	v_add_co_ci_u32_e64 v2, null, s4, 0, s2
	v_mov_b32_e32 v3, v0
	s_mov_b32 s4, 0
	s_lshl_b32 s5, s14, 3
	.p2align	6
.LBB27_20:                              ; =>This Inner Loop Header: Depth=1
	global_load_b64 v[5:6], v[1:2], off
	v_add_co_u32 v1, vcc_lo, v1, s5
	v_add_co_ci_u32_e32 v2, vcc_lo, 0, v2, vcc_lo
	s_waitcnt vmcnt(0)
	v_and_b32_e32 v8, 0xffff0000, v5
	v_lshlrev_b32_e32 v7, 16, v5
	v_alignbit_b32 v5, v6, v5, 16
	v_and_b32_e32 v6, 0xffff0000, v6
	s_delay_alu instid0(VALU_DEP_2) | instskip(NEXT) | instid1(VALU_DEP_1)
	v_dual_fmac_f32 v4, v7, v7 :: v_dual_and_b32 v5, 0xffff0000, v5
	v_dual_fmac_f32 v4, v8, v8 :: v_dual_add_nc_u32 v3, s14, v3
	s_delay_alu instid0(VALU_DEP_1) | instskip(NEXT) | instid1(VALU_DEP_2)
	v_fmac_f32_e32 v4, v5, v5
	v_cmp_le_i32_e64 s2, s10, v3
	s_delay_alu instid0(VALU_DEP_2) | instskip(NEXT) | instid1(VALU_DEP_2)
	v_fmac_f32_e32 v4, v6, v6
	s_or_b32 s4, s2, s4
	s_delay_alu instid0(SALU_CYCLE_1)
	s_and_not1_b32 exec_lo, exec_lo, s4
	s_cbranch_execnz .LBB27_20
; %bb.21:
	s_or_b32 exec_lo, exec_lo, s4
.LBB27_22:
	s_delay_alu instid0(SALU_CYCLE_1)
	s_or_b32 exec_lo, exec_lo, s3
.LBB27_23:
	v_mbcnt_lo_u32_b32 v1, -1, 0
	v_and_b32_e32 v3, 0x3e0, v0
	s_mov_b32 s2, exec_lo
	s_delay_alu instid0(VALU_DEP_2) | instskip(NEXT) | instid1(VALU_DEP_2)
	v_cmp_ne_u32_e32 vcc_lo, 31, v1
	v_sub_nc_u32_e64 v12, s14, v3 clamp
	v_add_nc_u32_e32 v3, 1, v1
	v_add_co_ci_u32_e32 v2, vcc_lo, 0, v1, vcc_lo
	v_cmp_gt_u32_e32 vcc_lo, 30, v1
	s_delay_alu instid0(VALU_DEP_2)
	v_lshlrev_b32_e32 v2, 2, v2
	v_cndmask_b32_e64 v6, 0, 1, vcc_lo
	v_cmp_lt_u32_e32 vcc_lo, v3, v12
	ds_bpermute_b32 v5, v2, v4
	s_waitcnt lgkmcnt(0)
	v_dual_add_f32 v7, v4, v5 :: v_dual_lshlrev_b32 v6, 1, v6
	s_delay_alu instid0(VALU_DEP_1) | instskip(NEXT) | instid1(VALU_DEP_2)
	v_cndmask_b32_e32 v7, v4, v7, vcc_lo
	v_add_lshl_u32 v5, v6, v1, 2
	v_cmp_gt_u32_e32 vcc_lo, 28, v1
	ds_bpermute_b32 v6, v5, v7
	v_cndmask_b32_e64 v4, 0, 1, vcc_lo
	s_delay_alu instid0(VALU_DEP_1) | instskip(SKIP_1) | instid1(VALU_DEP_1)
	v_lshlrev_b32_e32 v8, 2, v4
	v_add_nc_u32_e32 v4, 2, v1
	v_cmp_lt_u32_e32 vcc_lo, v4, v12
	s_waitcnt lgkmcnt(0)
	v_add_f32_e32 v9, v7, v6
	v_add_lshl_u32 v6, v8, v1, 2
	s_delay_alu instid0(VALU_DEP_2) | instskip(SKIP_2) | instid1(VALU_DEP_1)
	v_cndmask_b32_e32 v9, v7, v9, vcc_lo
	v_cmp_gt_u32_e32 vcc_lo, 24, v1
	v_cndmask_b32_e64 v7, 0, 1, vcc_lo
	v_lshlrev_b32_e32 v10, 3, v7
	ds_bpermute_b32 v8, v6, v9
	v_add_nc_u32_e32 v7, 4, v1
	s_delay_alu instid0(VALU_DEP_1) | instskip(SKIP_3) | instid1(VALU_DEP_2)
	v_cmp_lt_u32_e32 vcc_lo, v7, v12
	s_waitcnt lgkmcnt(0)
	v_add_f32_e32 v11, v9, v8
	v_add_lshl_u32 v8, v10, v1, 2
	v_cndmask_b32_e32 v11, v9, v11, vcc_lo
	v_cmp_gt_u32_e32 vcc_lo, 16, v1
	ds_bpermute_b32 v10, v8, v11
	v_cndmask_b32_e64 v9, 0, 1, vcc_lo
	s_delay_alu instid0(VALU_DEP_1) | instskip(SKIP_1) | instid1(VALU_DEP_1)
	v_lshlrev_b32_e32 v13, 4, v9
	v_add_nc_u32_e32 v9, 8, v1
	v_cmp_lt_u32_e32 vcc_lo, v9, v12
	s_waitcnt lgkmcnt(0)
	v_add_f32_e32 v14, v11, v10
	v_add_lshl_u32 v10, v13, v1, 2
	s_delay_alu instid0(VALU_DEP_2)
	v_cndmask_b32_e32 v13, v11, v14, vcc_lo
	v_add_nc_u32_e32 v11, 16, v1
	ds_bpermute_b32 v14, v10, v13
	v_cmp_lt_u32_e32 vcc_lo, v11, v12
	s_waitcnt lgkmcnt(0)
	v_add_f32_e32 v14, v13, v14
	s_delay_alu instid0(VALU_DEP_1)
	v_cndmask_b32_e32 v12, v13, v14, vcc_lo
	v_cmpx_eq_u32_e32 0, v1
	s_cbranch_execz .LBB27_25
; %bb.24:
	v_lshrrev_b32_e32 v13, 3, v0
	s_delay_alu instid0(VALU_DEP_1)
	v_and_b32_e32 v13, 0x7c, v13
	ds_store_b32 v13, v12
.LBB27_25:
	s_or_b32 exec_lo, exec_lo, s2
	s_delay_alu instid0(SALU_CYCLE_1)
	s_mov_b32 s2, exec_lo
	s_waitcnt lgkmcnt(0)
	s_barrier
	buffer_gl0_inv
	v_cmpx_gt_u32_e32 32, v0
	s_cbranch_execz .LBB27_27
; %bb.26:
	v_lshlrev_b32_e32 v1, 2, v1
	s_add_i32 s3, s14, 31
	s_delay_alu instid0(SALU_CYCLE_1) | instskip(NEXT) | instid1(SALU_CYCLE_1)
	s_lshr_b32 s3, s3, 5
	v_cmp_gt_u32_e32 vcc_lo, s3, v3
	ds_load_b32 v1, v1
	s_waitcnt lgkmcnt(0)
	ds_bpermute_b32 v2, v2, v1
	s_waitcnt lgkmcnt(0)
	v_add_f32_e32 v2, v1, v2
	s_delay_alu instid0(VALU_DEP_1) | instskip(SKIP_4) | instid1(VALU_DEP_1)
	v_cndmask_b32_e32 v1, v1, v2, vcc_lo
	v_cmp_gt_u32_e32 vcc_lo, s3, v4
	ds_bpermute_b32 v2, v5, v1
	s_waitcnt lgkmcnt(0)
	v_add_f32_e32 v2, v1, v2
	v_cndmask_b32_e32 v1, v1, v2, vcc_lo
	v_cmp_gt_u32_e32 vcc_lo, s3, v7
	ds_bpermute_b32 v2, v6, v1
	s_waitcnt lgkmcnt(0)
	v_add_f32_e32 v2, v1, v2
	s_delay_alu instid0(VALU_DEP_1) | instskip(SKIP_4) | instid1(VALU_DEP_1)
	v_cndmask_b32_e32 v1, v1, v2, vcc_lo
	v_cmp_gt_u32_e32 vcc_lo, s3, v9
	ds_bpermute_b32 v2, v8, v1
	s_waitcnt lgkmcnt(0)
	v_add_f32_e32 v2, v1, v2
	v_cndmask_b32_e32 v1, v1, v2, vcc_lo
	v_cmp_gt_u32_e32 vcc_lo, s3, v11
	ds_bpermute_b32 v2, v10, v1
	s_waitcnt lgkmcnt(0)
	v_add_f32_e32 v2, v1, v2
	s_delay_alu instid0(VALU_DEP_1)
	v_cndmask_b32_e32 v12, v1, v2, vcc_lo
.LBB27_27:
	s_or_b32 exec_lo, exec_lo, s2
	s_delay_alu instid0(SALU_CYCLE_1)
	s_mov_b32 s2, exec_lo
	v_cmpx_eq_u32_e32 0, v0
	s_cbranch_execz .LBB27_29
; %bb.28:
	v_cvt_f32_i32_e32 v1, s16
	s_load_b32 s3, s[0:1], 0x40
	s_delay_alu instid0(VALU_DEP_1) | instskip(SKIP_1) | instid1(VALU_DEP_2)
	v_div_scale_f32 v2, null, v1, v1, v12
	v_div_scale_f32 v5, vcc_lo, v12, v1, v12
	v_rcp_f32_e32 v3, v2
	s_waitcnt_depctr 0xfff
	v_fma_f32 v4, -v2, v3, 1.0
	s_delay_alu instid0(VALU_DEP_1) | instskip(NEXT) | instid1(VALU_DEP_1)
	v_fmac_f32_e32 v3, v4, v3
	v_mul_f32_e32 v4, v5, v3
	s_delay_alu instid0(VALU_DEP_1) | instskip(NEXT) | instid1(VALU_DEP_1)
	v_fma_f32 v6, -v2, v4, v5
	v_fmac_f32_e32 v4, v6, v3
	s_delay_alu instid0(VALU_DEP_1) | instskip(NEXT) | instid1(VALU_DEP_1)
	v_fma_f32 v2, -v2, v4, v5
	v_div_fmas_f32 v2, v2, v3, v4
	s_delay_alu instid0(VALU_DEP_1) | instskip(SKIP_1) | instid1(VALU_DEP_1)
	v_div_fixup_f32 v1, v2, v1, v12
	s_waitcnt lgkmcnt(0)
	v_add_f32_e32 v1, s3, v1
	s_delay_alu instid0(VALU_DEP_1) | instskip(SKIP_1) | instid1(VALU_DEP_2)
	v_mul_f32_e32 v2, 0x4b800000, v1
	v_cmp_gt_f32_e32 vcc_lo, 0x800000, v1
	v_cndmask_b32_e32 v1, v1, v2, vcc_lo
	s_delay_alu instid0(VALU_DEP_1) | instskip(SKIP_2) | instid1(VALU_DEP_1)
	v_rsq_f32_e32 v1, v1
	s_waitcnt_depctr 0xfff
	v_mul_f32_e32 v2, 0x45800000, v1
	v_dual_cndmask_b32 v1, v1, v2 :: v_dual_mov_b32 v2, 0
	ds_store_b32 v2, v1 offset:128
.LBB27_29:
	s_or_b32 exec_lo, exec_lo, s2
	s_ashr_i32 s2, s16, 31
	s_waitcnt lgkmcnt(0)
	s_lshr_b32 s2, s2, 30
	s_barrier
	s_add_i32 s2, s16, s2
	buffer_gl0_inv
	s_ashr_i32 s6, s2, 2
	s_mov_b32 s2, exec_lo
	v_cmpx_gt_i32_e64 s6, v0
	s_cbranch_execz .LBB27_32
; %bb.30:
	v_mov_b32_e32 v1, 0
	s_clause 0x1
	s_load_b64 s[8:9], s[0:1], 0x0
	s_load_b64 s[2:3], s[0:1], 0x38
	s_mul_i32 s4, s15, s16
	s_mov_b32 s5, 0
	v_lshlrev_b32_e32 v3, 3, v0
	ds_load_b32 v2, v1 offset:128
	s_lshl_b64 s[0:1], s[4:5], 1
	s_waitcnt lgkmcnt(0)
	s_add_u32 s4, s8, s0
	s_addc_u32 s7, s9, s1
	s_lshl_b32 s8, s14, 3
.LBB27_31:                              ; =>This Inner Loop Header: Depth=1
	v_add_co_u32 v4, vcc_lo, s12, v3
	v_add_co_ci_u32_e32 v5, vcc_lo, s13, v1, vcc_lo
	v_add_co_u32 v6, vcc_lo, s2, v3
	v_add_co_ci_u32_e32 v7, vcc_lo, s3, v1, vcc_lo
	v_add_co_u32 v8, vcc_lo, s4, v3
	global_load_b64 v[4:5], v[4:5], off
	global_load_b64 v[6:7], v[6:7], off
	v_add_co_ci_u32_e32 v9, vcc_lo, s7, v1, vcc_lo
	s_waitcnt vmcnt(1)
	v_lshlrev_b32_e32 v12, 16, v4
	s_waitcnt vmcnt(0)
	v_and_b32_e32 v11, 0xffff0000, v6
	v_lshlrev_b32_e32 v13, 16, v6
	v_alignbit_b32 v6, v7, v6, 16
	v_mul_f32_e32 v12, v2, v12
	s_delay_alu instid0(VALU_DEP_2) | instskip(NEXT) | instid1(VALU_DEP_2)
	v_and_b32_e32 v6, 0xffff0000, v6
	v_bfe_u32 v14, v12, 16, 1
	v_cmp_o_f32_e64 s1, v12, v12
	s_delay_alu instid0(VALU_DEP_2) | instskip(NEXT) | instid1(VALU_DEP_1)
	v_add3_u32 v14, v12, v14, 0x7fff
	v_and_b32_e32 v14, 0xffff0000, v14
	s_delay_alu instid0(VALU_DEP_1) | instskip(SKIP_2) | instid1(VALU_DEP_2)
	v_cndmask_b32_e64 v12, 0x7fc00000, v14, s1
	v_and_b32_e32 v10, 0xffff0000, v4
	v_alignbit_b32 v4, v5, v4, 16
	v_dual_mul_f32 v10, v2, v10 :: v_dual_and_b32 v5, 0xffff0000, v5
	s_delay_alu instid0(VALU_DEP_1) | instskip(NEXT) | instid1(VALU_DEP_2)
	v_dual_mul_f32 v5, v2, v5 :: v_dual_add_nc_u32 v0, s14, v0
	v_bfe_u32 v15, v10, 16, 1
	v_cmp_o_f32_e32 vcc_lo, v10, v10
	s_delay_alu instid0(VALU_DEP_3) | instskip(SKIP_1) | instid1(VALU_DEP_4)
	v_bfe_u32 v16, v5, 16, 1
	v_cmp_o_f32_e64 s0, v5, v5
	v_add3_u32 v15, v10, v15, 0x7fff
	s_delay_alu instid0(VALU_DEP_3) | instskip(NEXT) | instid1(VALU_DEP_2)
	v_add3_u32 v16, v5, v16, 0x7fff
	v_and_b32_e32 v15, 0xffff0000, v15
	s_delay_alu instid0(VALU_DEP_2) | instskip(NEXT) | instid1(VALU_DEP_2)
	v_and_b32_e32 v10, 0xffff0000, v16
	v_cndmask_b32_e32 v14, 0x7fc00000, v15, vcc_lo
	s_delay_alu instid0(VALU_DEP_2) | instskip(NEXT) | instid1(VALU_DEP_2)
	v_cndmask_b32_e64 v10, 0x7fc00000, v10, s0
	v_dual_mul_f32 v11, v14, v11 :: v_dual_and_b32 v4, 0xffff0000, v4
	s_delay_alu instid0(VALU_DEP_1) | instskip(NEXT) | instid1(VALU_DEP_1)
	v_mul_f32_e32 v4, v2, v4
	v_bfe_u32 v17, v4, 16, 1
	v_cmp_o_f32_e32 vcc_lo, v4, v4
	s_delay_alu instid0(VALU_DEP_2) | instskip(NEXT) | instid1(VALU_DEP_1)
	v_add3_u32 v17, v4, v17, 0x7fff
	v_and_b32_e32 v5, 0xffff0000, v17
	s_delay_alu instid0(VALU_DEP_1) | instskip(SKIP_2) | instid1(VALU_DEP_2)
	v_cndmask_b32_e32 v4, 0x7fc00000, v5, vcc_lo
	v_and_b32_e32 v7, 0xffff0000, v7
	v_mul_f32_e32 v5, v12, v13
	v_dual_mul_f32 v4, v4, v6 :: v_dual_mul_f32 v7, v10, v7
	s_delay_alu instid0(VALU_DEP_2) | instskip(SKIP_2) | instid1(VALU_DEP_4)
	v_bfe_u32 v6, v5, 16, 1
	v_bfe_u32 v10, v11, 16, 1
	v_cmp_o_f32_e32 vcc_lo, v5, v5
	v_bfe_u32 v13, v4, 16, 1
	v_bfe_u32 v12, v7, 16, 1
	v_cmp_o_f32_e64 s0, v7, v7
	v_add3_u32 v6, v5, v6, 0x7fff
	v_add3_u32 v10, v11, v10, 0x7fff
	;; [unrolled: 1-line block ×4, first 2 shown]
	s_delay_alu instid0(VALU_DEP_4) | instskip(NEXT) | instid1(VALU_DEP_4)
	v_lshrrev_b32_e32 v6, 16, v6
	v_and_b32_e32 v10, 0xffff0000, v10
	s_delay_alu instid0(VALU_DEP_4) | instskip(NEXT) | instid1(VALU_DEP_4)
	v_lshrrev_b32_e32 v5, 16, v13
	v_and_b32_e32 v12, 0xffff0000, v12
	s_delay_alu instid0(VALU_DEP_4) | instskip(SKIP_1) | instid1(VALU_DEP_3)
	v_cndmask_b32_e32 v6, 0x7fc0, v6, vcc_lo
	v_add_co_u32 v3, vcc_lo, v3, s8
	v_cndmask_b32_e64 v7, 0x7fc00000, v12, s0
	v_cmp_o_f32_e64 s0, v4, v4
	v_add_co_ci_u32_e32 v1, vcc_lo, 0, v1, vcc_lo
	s_delay_alu instid0(VALU_DEP_2) | instskip(SKIP_1) | instid1(VALU_DEP_2)
	v_cndmask_b32_e64 v4, 0x7fc0, v5, s0
	v_cmp_o_f32_e64 s0, v11, v11
	v_or_b32_e32 v7, v7, v4
	s_delay_alu instid0(VALU_DEP_2) | instskip(SKIP_1) | instid1(VALU_DEP_2)
	v_cndmask_b32_e64 v5, 0x7fc00000, v10, s0
	v_cmp_le_i32_e64 s0, s6, v0
	v_or3_b32 v4, 0, v5, v6
	s_delay_alu instid0(VALU_DEP_4) | instskip(NEXT) | instid1(VALU_DEP_3)
	v_or3_b32 v5, v7, 0, 0
	s_or_b32 s5, s0, s5
	global_store_b64 v[8:9], v[4:5], off
	s_and_not1_b32 exec_lo, exec_lo, s5
	s_cbranch_execnz .LBB27_31
.LBB27_32:
	s_nop 0
	s_sendmsg sendmsg(MSG_DEALLOC_VGPRS)
	s_endpgm
.LBB27_33:
                                        ; implicit-def: $sgpr10_sgpr11
	s_branch .LBB27_2
	.section	.rodata,"a",@progbits
	.p2align	6, 0x0
	.amdhsa_kernel _ZN4vllm15rms_norm_kernelIN3c108BFloat16ELi4ELi3EEEvPT_PKS3_lllllS6_fii
		.amdhsa_group_segment_fixed_size 132
		.amdhsa_private_segment_fixed_size 0
		.amdhsa_kernarg_size 336
		.amdhsa_user_sgpr_count 15
		.amdhsa_user_sgpr_dispatch_ptr 0
		.amdhsa_user_sgpr_queue_ptr 0
		.amdhsa_user_sgpr_kernarg_segment_ptr 1
		.amdhsa_user_sgpr_dispatch_id 0
		.amdhsa_user_sgpr_private_segment_size 0
		.amdhsa_wavefront_size32 1
		.amdhsa_uses_dynamic_stack 0
		.amdhsa_enable_private_segment 0
		.amdhsa_system_sgpr_workgroup_id_x 1
		.amdhsa_system_sgpr_workgroup_id_y 0
		.amdhsa_system_sgpr_workgroup_id_z 0
		.amdhsa_system_sgpr_workgroup_info 0
		.amdhsa_system_vgpr_workitem_id 0
		.amdhsa_next_free_vgpr 18
		.amdhsa_next_free_sgpr 24
		.amdhsa_reserve_vcc 1
		.amdhsa_float_round_mode_32 0
		.amdhsa_float_round_mode_16_64 0
		.amdhsa_float_denorm_mode_32 3
		.amdhsa_float_denorm_mode_16_64 3
		.amdhsa_dx10_clamp 1
		.amdhsa_ieee_mode 1
		.amdhsa_fp16_overflow 0
		.amdhsa_workgroup_processor_mode 1
		.amdhsa_memory_ordered 1
		.amdhsa_forward_progress 0
		.amdhsa_shared_vgpr_count 0
		.amdhsa_exception_fp_ieee_invalid_op 0
		.amdhsa_exception_fp_denorm_src 0
		.amdhsa_exception_fp_ieee_div_zero 0
		.amdhsa_exception_fp_ieee_overflow 0
		.amdhsa_exception_fp_ieee_underflow 0
		.amdhsa_exception_fp_ieee_inexact 0
		.amdhsa_exception_int_div_zero 0
	.end_amdhsa_kernel
	.section	.text._ZN4vllm15rms_norm_kernelIN3c108BFloat16ELi4ELi3EEEvPT_PKS3_lllllS6_fii,"axG",@progbits,_ZN4vllm15rms_norm_kernelIN3c108BFloat16ELi4ELi3EEEvPT_PKS3_lllllS6_fii,comdat
.Lfunc_end27:
	.size	_ZN4vllm15rms_norm_kernelIN3c108BFloat16ELi4ELi3EEEvPT_PKS3_lllllS6_fii, .Lfunc_end27-_ZN4vllm15rms_norm_kernelIN3c108BFloat16ELi4ELi3EEEvPT_PKS3_lllllS6_fii
                                        ; -- End function
	.section	.AMDGPU.csdata,"",@progbits
; Kernel info:
; codeLenInByte = 3244
; NumSgprs: 26
; NumVgprs: 18
; ScratchSize: 0
; MemoryBound: 0
; FloatMode: 240
; IeeeMode: 1
; LDSByteSize: 132 bytes/workgroup (compile time only)
; SGPRBlocks: 3
; VGPRBlocks: 2
; NumSGPRsForWavesPerEU: 26
; NumVGPRsForWavesPerEU: 18
; Occupancy: 16
; WaveLimiterHint : 0
; COMPUTE_PGM_RSRC2:SCRATCH_EN: 0
; COMPUTE_PGM_RSRC2:USER_SGPR: 15
; COMPUTE_PGM_RSRC2:TRAP_HANDLER: 0
; COMPUTE_PGM_RSRC2:TGID_X_EN: 1
; COMPUTE_PGM_RSRC2:TGID_Y_EN: 0
; COMPUTE_PGM_RSRC2:TGID_Z_EN: 0
; COMPUTE_PGM_RSRC2:TIDIG_COMP_CNT: 0
	.section	.text._ZN4vllm15rms_norm_kernelIN3c108BFloat16ELi2ELi3EEEvPT_PKS3_lllllS6_fii,"axG",@progbits,_ZN4vllm15rms_norm_kernelIN3c108BFloat16ELi2ELi3EEEvPT_PKS3_lllllS6_fii,comdat
	.protected	_ZN4vllm15rms_norm_kernelIN3c108BFloat16ELi2ELi3EEEvPT_PKS3_lllllS6_fii ; -- Begin function _ZN4vllm15rms_norm_kernelIN3c108BFloat16ELi2ELi3EEEvPT_PKS3_lllllS6_fii
	.globl	_ZN4vllm15rms_norm_kernelIN3c108BFloat16ELi2ELi3EEEvPT_PKS3_lllllS6_fii
	.p2align	8
	.type	_ZN4vllm15rms_norm_kernelIN3c108BFloat16ELi2ELi3EEEvPT_PKS3_lllllS6_fii,@function
_ZN4vllm15rms_norm_kernelIN3c108BFloat16ELi2ELi3EEEvPT_PKS3_lllllS6_fii: ; @_ZN4vllm15rms_norm_kernelIN3c108BFloat16ELi2ELi3EEEvPT_PKS3_lllllS6_fii
; %bb.0:
	s_clause 0x1
	s_load_b64 s[2:3], s[0:1], 0x28
	s_load_b64 s[6:7], s[0:1], 0x8
	s_mov_b32 s4, 0
	s_waitcnt lgkmcnt(0)
	s_mov_b32 s5, s3
	s_delay_alu instid0(SALU_CYCLE_1)
	s_cmp_lg_u64 s[4:5], 0
	s_cbranch_scc0 .LBB28_32
; %bb.1:
	s_ashr_i32 s8, s3, 31
	s_delay_alu instid0(SALU_CYCLE_1) | instskip(SKIP_2) | instid1(SALU_CYCLE_1)
	s_add_u32 s10, s2, s8
	s_mov_b32 s9, s8
	s_addc_u32 s11, s3, s8
	s_xor_b64 s[10:11], s[10:11], s[8:9]
	s_delay_alu instid0(SALU_CYCLE_1) | instskip(SKIP_3) | instid1(VALU_DEP_1)
	v_cvt_f32_u32_e32 v1, s10
	v_cvt_f32_u32_e32 v2, s11
	s_sub_u32 s12, 0, s10
	s_subb_u32 s13, 0, s11
	v_fmamk_f32 v1, v2, 0x4f800000, v1
	s_delay_alu instid0(VALU_DEP_1) | instskip(SKIP_2) | instid1(VALU_DEP_1)
	v_rcp_f32_e32 v1, v1
	s_waitcnt_depctr 0xfff
	v_mul_f32_e32 v1, 0x5f7ffffc, v1
	v_mul_f32_e32 v2, 0x2f800000, v1
	s_delay_alu instid0(VALU_DEP_1) | instskip(NEXT) | instid1(VALU_DEP_1)
	v_trunc_f32_e32 v2, v2
	v_fmamk_f32 v1, v2, 0xcf800000, v1
	v_cvt_u32_f32_e32 v2, v2
	s_delay_alu instid0(VALU_DEP_2) | instskip(NEXT) | instid1(VALU_DEP_2)
	v_cvt_u32_f32_e32 v1, v1
	v_readfirstlane_b32 s3, v2
	s_delay_alu instid0(VALU_DEP_2) | instskip(NEXT) | instid1(VALU_DEP_2)
	v_readfirstlane_b32 s5, v1
	s_mul_i32 s14, s12, s3
	s_delay_alu instid0(VALU_DEP_1)
	s_mul_hi_u32 s17, s12, s5
	s_mul_i32 s16, s13, s5
	s_add_i32 s14, s17, s14
	s_mul_i32 s18, s12, s5
	s_add_i32 s14, s14, s16
	s_mul_hi_u32 s17, s5, s18
	s_mul_hi_u32 s19, s3, s18
	s_mul_i32 s16, s3, s18
	s_mul_hi_u32 s18, s5, s14
	s_mul_i32 s5, s5, s14
	s_mul_hi_u32 s20, s3, s14
	s_add_u32 s5, s17, s5
	s_addc_u32 s17, 0, s18
	s_add_u32 s5, s5, s16
	s_mul_i32 s14, s3, s14
	s_addc_u32 s5, s17, s19
	s_addc_u32 s16, s20, 0
	s_add_u32 s5, s5, s14
	s_addc_u32 s14, 0, s16
	v_add_co_u32 v1, s5, v1, s5
	s_delay_alu instid0(VALU_DEP_1) | instskip(SKIP_1) | instid1(VALU_DEP_1)
	s_cmp_lg_u32 s5, 0
	s_addc_u32 s3, s3, s14
	v_readfirstlane_b32 s5, v1
	s_mul_i32 s14, s12, s3
	s_delay_alu instid0(VALU_DEP_1)
	s_mul_hi_u32 s16, s12, s5
	s_mul_i32 s13, s13, s5
	s_add_i32 s14, s16, s14
	s_mul_i32 s12, s12, s5
	s_add_i32 s14, s14, s13
	s_mul_hi_u32 s16, s3, s12
	s_mul_i32 s17, s3, s12
	s_mul_hi_u32 s12, s5, s12
	s_mul_hi_u32 s18, s5, s14
	s_mul_i32 s5, s5, s14
	s_mul_hi_u32 s13, s3, s14
	s_add_u32 s5, s12, s5
	s_addc_u32 s12, 0, s18
	s_add_u32 s5, s5, s17
	s_mul_i32 s14, s3, s14
	s_addc_u32 s5, s12, s16
	s_addc_u32 s12, s13, 0
	s_add_u32 s5, s5, s14
	s_addc_u32 s12, 0, s12
	v_add_co_u32 v1, s5, v1, s5
	s_delay_alu instid0(VALU_DEP_1) | instskip(SKIP_1) | instid1(VALU_DEP_1)
	s_cmp_lg_u32 s5, 0
	s_addc_u32 s3, s3, s12
	v_readfirstlane_b32 s5, v1
	s_mul_i32 s12, s15, s3
	s_mul_hi_u32 s3, s15, s3
	s_delay_alu instid0(VALU_DEP_1) | instskip(NEXT) | instid1(SALU_CYCLE_1)
	s_mul_hi_u32 s5, s15, s5
	s_add_u32 s5, s5, s12
	s_addc_u32 s3, 0, s3
	s_add_u32 s5, s5, 0
	s_addc_u32 s3, s3, 0
	s_addc_u32 s5, 0, 0
	s_add_u32 s3, s3, 0
	s_addc_u32 s5, 0, s5
	s_mul_hi_u32 s12, s10, s3
	s_mul_i32 s14, s10, s5
	s_mul_i32 s16, s10, s3
	s_add_i32 s12, s12, s14
	v_sub_co_u32 v1, s14, s15, s16
	s_mul_i32 s13, s11, s3
	s_delay_alu instid0(SALU_CYCLE_1) | instskip(NEXT) | instid1(VALU_DEP_1)
	s_add_i32 s12, s12, s13
	v_sub_co_u32 v2, s16, v1, s10
	s_sub_i32 s13, 0, s12
	s_cmp_lg_u32 s14, 0
	s_subb_u32 s13, s13, s11
	s_cmp_lg_u32 s16, 0
	v_readfirstlane_b32 s16, v2
	s_subb_u32 s13, s13, 0
	s_delay_alu instid0(SALU_CYCLE_1) | instskip(SKIP_1) | instid1(VALU_DEP_1)
	s_cmp_ge_u32 s13, s11
	s_cselect_b32 s17, -1, 0
	s_cmp_ge_u32 s16, s10
	s_cselect_b32 s16, -1, 0
	s_cmp_eq_u32 s13, s11
	s_cselect_b32 s13, s16, s17
	s_add_u32 s16, s3, 1
	s_addc_u32 s17, s5, 0
	s_add_u32 s18, s3, 2
	s_addc_u32 s19, s5, 0
	s_cmp_lg_u32 s13, 0
	s_cselect_b32 s13, s18, s16
	s_cselect_b32 s16, s19, s17
	s_cmp_lg_u32 s14, 0
	v_readfirstlane_b32 s14, v1
	s_subb_u32 s12, 0, s12
	s_delay_alu instid0(SALU_CYCLE_1) | instskip(SKIP_1) | instid1(VALU_DEP_1)
	s_cmp_ge_u32 s12, s11
	s_cselect_b32 s17, -1, 0
	s_cmp_ge_u32 s14, s10
	s_cselect_b32 s10, -1, 0
	s_cmp_eq_u32 s12, s11
	s_cselect_b32 s10, s10, s17
	s_delay_alu instid0(SALU_CYCLE_1) | instskip(SKIP_2) | instid1(SALU_CYCLE_1)
	s_cmp_lg_u32 s10, 0
	s_cselect_b32 s11, s16, s5
	s_cselect_b32 s10, s13, s3
	s_xor_b64 s[10:11], s[10:11], s[8:9]
	s_delay_alu instid0(SALU_CYCLE_1)
	s_sub_u32 s10, s10, s8
	s_subb_u32 s11, s11, s8
	s_and_not1_b32 vcc_lo, exec_lo, s4
	s_cbranch_vccnz .LBB28_3
.LBB28_2:
	v_cvt_f32_u32_e32 v1, s2
	s_sub_i32 s4, 0, s2
	s_mov_b32 s11, 0
	s_delay_alu instid0(VALU_DEP_1) | instskip(SKIP_2) | instid1(VALU_DEP_1)
	v_rcp_iflag_f32_e32 v1, v1
	s_waitcnt_depctr 0xfff
	v_mul_f32_e32 v1, 0x4f7ffffe, v1
	v_cvt_u32_f32_e32 v1, v1
	s_delay_alu instid0(VALU_DEP_1) | instskip(NEXT) | instid1(VALU_DEP_1)
	v_readfirstlane_b32 s3, v1
	s_mul_i32 s4, s4, s3
	s_delay_alu instid0(SALU_CYCLE_1) | instskip(NEXT) | instid1(SALU_CYCLE_1)
	s_mul_hi_u32 s4, s3, s4
	s_add_i32 s3, s3, s4
	s_delay_alu instid0(SALU_CYCLE_1) | instskip(NEXT) | instid1(SALU_CYCLE_1)
	s_mul_hi_u32 s3, s15, s3
	s_mul_i32 s4, s3, s2
	s_add_i32 s5, s3, 1
	s_sub_i32 s4, s15, s4
	s_delay_alu instid0(SALU_CYCLE_1)
	s_sub_i32 s8, s4, s2
	s_cmp_ge_u32 s4, s2
	s_cselect_b32 s3, s5, s3
	s_cselect_b32 s4, s8, s4
	s_add_i32 s5, s3, 1
	s_cmp_ge_u32 s4, s2
	s_cselect_b32 s10, s5, s3
.LBB28_3:
	s_load_b128 s[20:23], s[0:1], 0x10
	s_mul_i32 s4, s10, s2
	s_bfe_i64 s[2:3], s[10:11], 0x200000
	s_clause 0x1
	s_load_b32 s16, s[0:1], 0x48
	s_load_b32 s12, s[0:1], 0x5c
	s_sub_i32 s4, s15, s4
	s_waitcnt lgkmcnt(0)
	s_mul_i32 s2, s10, s23
	s_mul_hi_u32 s5, s10, s22
	s_mul_i32 s3, s3, s22
	s_add_i32 s5, s5, s2
	s_mul_i32 s2, s10, s22
	s_add_i32 s3, s5, s3
	s_mul_i32 s5, s4, s21
	s_lshl_b64 s[8:9], s[2:3], 1
	s_mul_hi_u32 s2, s4, s20
	s_add_u32 s13, s6, s8
	s_addc_u32 s14, s7, s9
	s_ashr_i32 s3, s4, 31
	s_add_i32 s5, s2, s5
	s_mul_i32 s3, s3, s20
	s_mul_i32 s2, s4, s20
	s_add_i32 s3, s5, s3
	s_delay_alu instid0(SALU_CYCLE_1)
	s_lshl_b64 s[10:11], s[2:3], 1
	s_mov_b32 s3, 0
	s_add_u32 s4, s13, s10
	s_addc_u32 s5, s14, s11
	s_and_b32 s2, s4, 3
	s_and_b32 s14, s12, 0xffff
	s_cmp_lg_u64 s[2:3], 0
	s_cselect_b32 s2, -1, 0
	s_bitcmp1_b32 s16, 0
	s_cselect_b32 s3, -1, 0
	s_delay_alu instid0(SALU_CYCLE_1) | instskip(NEXT) | instid1(SALU_CYCLE_1)
	s_or_b32 s2, s3, s2
	s_and_b32 vcc_lo, exec_lo, s2
	s_cbranch_vccz .LBB28_16
; %bb.4:
	s_sub_i32 s2, 0, s4
	v_mov_b32_e32 v4, 0
	s_bfe_u32 s2, s2, 0x10001
	s_mov_b32 s13, exec_lo
	s_min_i32 s12, s2, s16
	s_delay_alu instid0(SALU_CYCLE_1)
	v_cmpx_gt_i32_e64 s12, v0
	s_cbranch_execz .LBB28_7
; %bb.5:
	v_dual_mov_b32 v1, 0 :: v_dual_mov_b32 v4, 0
	s_lshl_b32 s17, s14, 1
	s_mov_b32 s18, 0
	s_mov_b64 s[2:3], s[4:5]
.LBB28_6:                               ; =>This Inner Loop Header: Depth=1
	global_load_u16 v2, v1, s[2:3]
	s_add_i32 s18, s18, s14
	s_add_u32 s2, s2, s17
	s_addc_u32 s3, s3, 0
	s_cmp_ge_i32 s18, s12
	s_waitcnt vmcnt(0)
	v_lshlrev_b32_e32 v2, 16, v2
	s_delay_alu instid0(VALU_DEP_1)
	v_fmac_f32_e32 v4, v2, v2
	s_cbranch_scc0 .LBB28_6
.LBB28_7:
	s_or_b32 exec_lo, exec_lo, s13
	s_sub_i32 s3, s16, s12
	s_ashr_i32 s13, s12, 31
	s_lshr_b32 s2, s3, 31
	s_mov_b32 s18, exec_lo
	s_add_i32 s2, s3, s2
	s_delay_alu instid0(SALU_CYCLE_1) | instskip(NEXT) | instid1(SALU_CYCLE_1)
	s_ashr_i32 s17, s2, 1
	v_cmpx_gt_i32_e64 s17, v0
	s_cbranch_execz .LBB28_11
; %bb.8:
	s_add_u32 s2, s10, s8
	s_addc_u32 s19, s11, s9
	s_lshl_b64 s[20:21], s[12:13], 1
	v_lshlrev_b32_e32 v1, 2, v0
	s_add_u32 s20, s6, s20
	s_addc_u32 s21, s7, s21
	s_add_u32 s2, s20, s2
	s_addc_u32 s19, s21, s19
	v_add_co_u32 v1, s2, s2, v1
	s_delay_alu instid0(VALU_DEP_1)
	v_add_co_ci_u32_e64 v2, null, s19, 0, s2
	v_mov_b32_e32 v3, v0
	s_mov_b32 s19, 0
	s_lshl_b32 s20, s14, 2
.LBB28_9:                               ; =>This Inner Loop Header: Depth=1
	global_load_b32 v5, v[1:2], off
	v_add_co_u32 v1, vcc_lo, v1, s20
	v_add_co_ci_u32_e32 v2, vcc_lo, 0, v2, vcc_lo
	s_waitcnt vmcnt(0)
	v_lshlrev_b32_e32 v6, 16, v5
	v_add_nc_u32_e32 v3, s14, v3
	s_delay_alu instid0(VALU_DEP_2) | instskip(NEXT) | instid1(VALU_DEP_2)
	v_dual_fmac_f32 v4, v6, v6 :: v_dual_and_b32 v5, 0xffff0000, v5
	v_cmp_le_i32_e64 s2, s17, v3
	s_delay_alu instid0(VALU_DEP_2) | instskip(NEXT) | instid1(VALU_DEP_2)
	v_fmac_f32_e32 v4, v5, v5
	s_or_b32 s19, s2, s19
	s_delay_alu instid0(SALU_CYCLE_1)
	s_and_not1_b32 exec_lo, exec_lo, s19
	s_cbranch_execnz .LBB28_9
; %bb.10:
	s_or_b32 exec_lo, exec_lo, s19
.LBB28_11:
	s_delay_alu instid0(SALU_CYCLE_1) | instskip(SKIP_2) | instid1(VALU_DEP_1)
	s_or_b32 exec_lo, exec_lo, s18
	v_lshl_add_u32 v1, s17, 1, v0
	s_mov_b32 s17, exec_lo
	v_cmpx_gt_i32_e64 s3, v1
	s_cbranch_execz .LBB28_15
; %bb.12:
	v_ashrrev_i32_e32 v2, 31, v1
	s_add_u32 s2, s10, s8
	s_addc_u32 s18, s11, s9
	s_lshl_b64 s[12:13], s[12:13], 1
	s_delay_alu instid0(SALU_CYCLE_1)
	s_add_u32 s2, s2, s12
	v_lshlrev_b64 v[2:3], 1, v[1:2]
	s_addc_u32 s12, s18, s13
	s_add_u32 s2, s6, s2
	s_addc_u32 s12, s7, s12
	s_lshl_b32 s13, s14, 1
	s_delay_alu instid0(VALU_DEP_1)
	v_add_co_u32 v2, vcc_lo, s2, v2
	v_add_co_ci_u32_e32 v3, vcc_lo, s12, v3, vcc_lo
	s_mov_b32 s12, 0
.LBB28_13:                              ; =>This Inner Loop Header: Depth=1
	global_load_u16 v5, v[2:3], off
	v_add_nc_u32_e32 v1, s14, v1
	v_add_co_u32 v2, vcc_lo, v2, s13
	v_add_co_ci_u32_e32 v3, vcc_lo, 0, v3, vcc_lo
	s_delay_alu instid0(VALU_DEP_3) | instskip(NEXT) | instid1(VALU_DEP_1)
	v_cmp_le_i32_e64 s2, s3, v1
	s_or_b32 s12, s2, s12
	s_waitcnt vmcnt(0)
	v_lshlrev_b32_e32 v5, 16, v5
	s_delay_alu instid0(VALU_DEP_1)
	v_fmac_f32_e32 v4, v5, v5
	s_and_not1_b32 exec_lo, exec_lo, s12
	s_cbranch_execnz .LBB28_13
; %bb.14:
	s_or_b32 exec_lo, exec_lo, s12
.LBB28_15:
	s_delay_alu instid0(SALU_CYCLE_1)
	s_or_b32 exec_lo, exec_lo, s17
	s_branch .LBB28_22
.LBB28_16:
                                        ; implicit-def: $vgpr4
	s_cbranch_execz .LBB28_22
; %bb.17:
	v_mov_b32_e32 v4, 0
	s_ashr_i32 s12, s16, 1
	s_mov_b32 s3, exec_lo
	v_cmpx_gt_i32_e64 s12, v0
	s_cbranch_execz .LBB28_21
; %bb.18:
	v_dual_mov_b32 v4, 0 :: v_dual_lshlrev_b32 v1, 2, v0
	s_add_u32 s2, s10, s8
	s_addc_u32 s8, s11, s9
	s_add_u32 s2, s6, s2
	s_addc_u32 s6, s7, s8
	v_add_co_u32 v1, s2, s2, v1
	s_delay_alu instid0(VALU_DEP_1)
	v_add_co_ci_u32_e64 v2, null, s6, 0, s2
	v_mov_b32_e32 v3, v0
	s_mov_b32 s6, 0
	s_lshl_b32 s7, s14, 2
.LBB28_19:                              ; =>This Inner Loop Header: Depth=1
	global_load_b32 v5, v[1:2], off
	v_add_co_u32 v1, vcc_lo, v1, s7
	v_add_co_ci_u32_e32 v2, vcc_lo, 0, v2, vcc_lo
	s_waitcnt vmcnt(0)
	v_lshlrev_b32_e32 v6, 16, v5
	v_add_nc_u32_e32 v3, s14, v3
	s_delay_alu instid0(VALU_DEP_2) | instskip(NEXT) | instid1(VALU_DEP_2)
	v_dual_fmac_f32 v4, v6, v6 :: v_dual_and_b32 v5, 0xffff0000, v5
	v_cmp_le_i32_e64 s2, s12, v3
	s_delay_alu instid0(VALU_DEP_2) | instskip(NEXT) | instid1(VALU_DEP_2)
	v_fmac_f32_e32 v4, v5, v5
	s_or_b32 s6, s2, s6
	s_delay_alu instid0(SALU_CYCLE_1)
	s_and_not1_b32 exec_lo, exec_lo, s6
	s_cbranch_execnz .LBB28_19
; %bb.20:
	s_or_b32 exec_lo, exec_lo, s6
.LBB28_21:
	s_delay_alu instid0(SALU_CYCLE_1)
	s_or_b32 exec_lo, exec_lo, s3
.LBB28_22:
	v_mbcnt_lo_u32_b32 v1, -1, 0
	v_and_b32_e32 v3, 0x3e0, v0
	s_mov_b32 s2, exec_lo
	s_delay_alu instid0(VALU_DEP_2) | instskip(NEXT) | instid1(VALU_DEP_2)
	v_cmp_ne_u32_e32 vcc_lo, 31, v1
	v_sub_nc_u32_e64 v12, s14, v3 clamp
	v_add_nc_u32_e32 v3, 1, v1
	v_add_co_ci_u32_e32 v2, vcc_lo, 0, v1, vcc_lo
	v_cmp_gt_u32_e32 vcc_lo, 30, v1
	s_delay_alu instid0(VALU_DEP_2)
	v_lshlrev_b32_e32 v2, 2, v2
	v_cndmask_b32_e64 v6, 0, 1, vcc_lo
	v_cmp_lt_u32_e32 vcc_lo, v3, v12
	ds_bpermute_b32 v5, v2, v4
	s_waitcnt lgkmcnt(0)
	v_dual_add_f32 v7, v4, v5 :: v_dual_lshlrev_b32 v6, 1, v6
	s_delay_alu instid0(VALU_DEP_1) | instskip(NEXT) | instid1(VALU_DEP_2)
	v_cndmask_b32_e32 v7, v4, v7, vcc_lo
	v_add_lshl_u32 v5, v6, v1, 2
	v_cmp_gt_u32_e32 vcc_lo, 28, v1
	ds_bpermute_b32 v6, v5, v7
	v_cndmask_b32_e64 v4, 0, 1, vcc_lo
	s_delay_alu instid0(VALU_DEP_1) | instskip(SKIP_1) | instid1(VALU_DEP_1)
	v_lshlrev_b32_e32 v8, 2, v4
	v_add_nc_u32_e32 v4, 2, v1
	v_cmp_lt_u32_e32 vcc_lo, v4, v12
	s_waitcnt lgkmcnt(0)
	v_add_f32_e32 v9, v7, v6
	v_add_lshl_u32 v6, v8, v1, 2
	s_delay_alu instid0(VALU_DEP_2) | instskip(SKIP_2) | instid1(VALU_DEP_1)
	v_cndmask_b32_e32 v9, v7, v9, vcc_lo
	v_cmp_gt_u32_e32 vcc_lo, 24, v1
	v_cndmask_b32_e64 v7, 0, 1, vcc_lo
	v_lshlrev_b32_e32 v10, 3, v7
	ds_bpermute_b32 v8, v6, v9
	v_add_nc_u32_e32 v7, 4, v1
	s_delay_alu instid0(VALU_DEP_1) | instskip(SKIP_3) | instid1(VALU_DEP_2)
	v_cmp_lt_u32_e32 vcc_lo, v7, v12
	s_waitcnt lgkmcnt(0)
	v_add_f32_e32 v11, v9, v8
	v_add_lshl_u32 v8, v10, v1, 2
	v_cndmask_b32_e32 v11, v9, v11, vcc_lo
	v_cmp_gt_u32_e32 vcc_lo, 16, v1
	ds_bpermute_b32 v10, v8, v11
	v_cndmask_b32_e64 v9, 0, 1, vcc_lo
	s_delay_alu instid0(VALU_DEP_1) | instskip(SKIP_1) | instid1(VALU_DEP_1)
	v_lshlrev_b32_e32 v13, 4, v9
	v_add_nc_u32_e32 v9, 8, v1
	v_cmp_lt_u32_e32 vcc_lo, v9, v12
	s_waitcnt lgkmcnt(0)
	v_add_f32_e32 v14, v11, v10
	v_add_lshl_u32 v10, v13, v1, 2
	s_delay_alu instid0(VALU_DEP_2)
	v_cndmask_b32_e32 v13, v11, v14, vcc_lo
	v_add_nc_u32_e32 v11, 16, v1
	ds_bpermute_b32 v14, v10, v13
	v_cmp_lt_u32_e32 vcc_lo, v11, v12
	s_waitcnt lgkmcnt(0)
	v_add_f32_e32 v14, v13, v14
	s_delay_alu instid0(VALU_DEP_1)
	v_cndmask_b32_e32 v12, v13, v14, vcc_lo
	v_cmpx_eq_u32_e32 0, v1
	s_cbranch_execz .LBB28_24
; %bb.23:
	v_lshrrev_b32_e32 v13, 3, v0
	s_delay_alu instid0(VALU_DEP_1)
	v_and_b32_e32 v13, 0x7c, v13
	ds_store_b32 v13, v12
.LBB28_24:
	s_or_b32 exec_lo, exec_lo, s2
	s_delay_alu instid0(SALU_CYCLE_1)
	s_mov_b32 s2, exec_lo
	s_waitcnt lgkmcnt(0)
	s_barrier
	buffer_gl0_inv
	v_cmpx_gt_u32_e32 32, v0
	s_cbranch_execz .LBB28_26
; %bb.25:
	v_lshlrev_b32_e32 v1, 2, v1
	s_add_i32 s3, s14, 31
	s_delay_alu instid0(SALU_CYCLE_1) | instskip(NEXT) | instid1(SALU_CYCLE_1)
	s_lshr_b32 s3, s3, 5
	v_cmp_gt_u32_e32 vcc_lo, s3, v3
	ds_load_b32 v1, v1
	s_waitcnt lgkmcnt(0)
	ds_bpermute_b32 v2, v2, v1
	s_waitcnt lgkmcnt(0)
	v_add_f32_e32 v2, v1, v2
	s_delay_alu instid0(VALU_DEP_1) | instskip(SKIP_4) | instid1(VALU_DEP_1)
	v_cndmask_b32_e32 v1, v1, v2, vcc_lo
	v_cmp_gt_u32_e32 vcc_lo, s3, v4
	ds_bpermute_b32 v2, v5, v1
	s_waitcnt lgkmcnt(0)
	v_add_f32_e32 v2, v1, v2
	v_cndmask_b32_e32 v1, v1, v2, vcc_lo
	v_cmp_gt_u32_e32 vcc_lo, s3, v7
	ds_bpermute_b32 v2, v6, v1
	s_waitcnt lgkmcnt(0)
	v_add_f32_e32 v2, v1, v2
	s_delay_alu instid0(VALU_DEP_1) | instskip(SKIP_4) | instid1(VALU_DEP_1)
	v_cndmask_b32_e32 v1, v1, v2, vcc_lo
	v_cmp_gt_u32_e32 vcc_lo, s3, v9
	ds_bpermute_b32 v2, v8, v1
	s_waitcnt lgkmcnt(0)
	v_add_f32_e32 v2, v1, v2
	v_cndmask_b32_e32 v1, v1, v2, vcc_lo
	v_cmp_gt_u32_e32 vcc_lo, s3, v11
	ds_bpermute_b32 v2, v10, v1
	s_waitcnt lgkmcnt(0)
	v_add_f32_e32 v2, v1, v2
	s_delay_alu instid0(VALU_DEP_1)
	v_cndmask_b32_e32 v12, v1, v2, vcc_lo
.LBB28_26:
	s_or_b32 exec_lo, exec_lo, s2
	s_delay_alu instid0(SALU_CYCLE_1)
	s_mov_b32 s2, exec_lo
	v_cmpx_eq_u32_e32 0, v0
	s_cbranch_execz .LBB28_28
; %bb.27:
	v_cvt_f32_i32_e32 v1, s16
	s_load_b32 s3, s[0:1], 0x40
	s_delay_alu instid0(VALU_DEP_1) | instskip(SKIP_1) | instid1(VALU_DEP_2)
	v_div_scale_f32 v2, null, v1, v1, v12
	v_div_scale_f32 v5, vcc_lo, v12, v1, v12
	v_rcp_f32_e32 v3, v2
	s_waitcnt_depctr 0xfff
	v_fma_f32 v4, -v2, v3, 1.0
	s_delay_alu instid0(VALU_DEP_1) | instskip(NEXT) | instid1(VALU_DEP_1)
	v_fmac_f32_e32 v3, v4, v3
	v_mul_f32_e32 v4, v5, v3
	s_delay_alu instid0(VALU_DEP_1) | instskip(NEXT) | instid1(VALU_DEP_1)
	v_fma_f32 v6, -v2, v4, v5
	v_fmac_f32_e32 v4, v6, v3
	s_delay_alu instid0(VALU_DEP_1) | instskip(NEXT) | instid1(VALU_DEP_1)
	v_fma_f32 v2, -v2, v4, v5
	v_div_fmas_f32 v2, v2, v3, v4
	s_delay_alu instid0(VALU_DEP_1) | instskip(SKIP_1) | instid1(VALU_DEP_1)
	v_div_fixup_f32 v1, v2, v1, v12
	s_waitcnt lgkmcnt(0)
	v_add_f32_e32 v1, s3, v1
	s_delay_alu instid0(VALU_DEP_1) | instskip(SKIP_1) | instid1(VALU_DEP_2)
	v_mul_f32_e32 v2, 0x4b800000, v1
	v_cmp_gt_f32_e32 vcc_lo, 0x800000, v1
	v_cndmask_b32_e32 v1, v1, v2, vcc_lo
	s_delay_alu instid0(VALU_DEP_1) | instskip(SKIP_2) | instid1(VALU_DEP_1)
	v_rsq_f32_e32 v1, v1
	s_waitcnt_depctr 0xfff
	v_mul_f32_e32 v2, 0x45800000, v1
	v_dual_cndmask_b32 v1, v1, v2 :: v_dual_mov_b32 v2, 0
	ds_store_b32 v2, v1 offset:128
.LBB28_28:
	s_or_b32 exec_lo, exec_lo, s2
	s_lshr_b32 s2, s16, 31
	s_waitcnt lgkmcnt(0)
	s_add_i32 s2, s16, s2
	s_barrier
	s_ashr_i32 s6, s2, 1
	buffer_gl0_inv
	s_mov_b32 s2, exec_lo
	v_cmpx_gt_i32_e64 s6, v0
	s_cbranch_execz .LBB28_31
; %bb.29:
	v_mov_b32_e32 v1, 0
	s_clause 0x1
	s_load_b64 s[8:9], s[0:1], 0x0
	s_load_b64 s[2:3], s[0:1], 0x38
	s_mul_i32 s0, s15, s16
	s_mov_b32 s1, 0
	v_lshlrev_b32_e32 v3, 2, v0
	ds_load_b32 v2, v1 offset:128
	s_lshl_b64 s[10:11], s[0:1], 1
	s_waitcnt lgkmcnt(0)
	s_add_u32 s7, s8, s10
	s_addc_u32 s8, s9, s11
	s_lshl_b32 s9, s14, 2
.LBB28_30:                              ; =>This Inner Loop Header: Depth=1
	v_add_co_u32 v4, vcc_lo, s4, v3
	v_add_co_ci_u32_e32 v5, vcc_lo, s5, v1, vcc_lo
	v_add_nc_u32_e32 v0, s14, v0
	global_load_b32 v6, v[4:5], off
	v_add_co_u32 v4, vcc_lo, s2, v3
	v_add_co_ci_u32_e32 v5, vcc_lo, s3, v1, vcc_lo
	global_load_b32 v4, v[4:5], off
	s_waitcnt vmcnt(0)
	v_and_b32_e32 v9, 0xffff0000, v4
	v_lshlrev_b32_e32 v4, 16, v4
	v_and_b32_e32 v5, 0xffff0000, v6
	v_lshlrev_b32_e32 v6, 16, v6
	s_delay_alu instid0(VALU_DEP_1) | instskip(NEXT) | instid1(VALU_DEP_1)
	v_mul_f32_e32 v6, v2, v6
	v_bfe_u32 v8, v6, 16, 1
	v_cmp_o_f32_e32 vcc_lo, v6, v6
	s_delay_alu instid0(VALU_DEP_2) | instskip(NEXT) | instid1(VALU_DEP_1)
	v_add3_u32 v8, v6, v8, 0x7fff
	v_and_b32_e32 v8, 0xffff0000, v8
	s_delay_alu instid0(VALU_DEP_1) | instskip(NEXT) | instid1(VALU_DEP_1)
	v_cndmask_b32_e32 v6, 0x7fc00000, v8, vcc_lo
	v_mul_f32_e32 v6, v6, v4
	v_mul_f32_e32 v5, v2, v5
	v_add_co_u32 v4, vcc_lo, s7, v3
	s_delay_alu instid0(VALU_DEP_3) | instskip(NEXT) | instid1(VALU_DEP_3)
	v_bfe_u32 v8, v6, 16, 1
	v_bfe_u32 v7, v5, 16, 1
	v_cmp_o_f32_e64 s0, v5, v5
	s_delay_alu instid0(VALU_DEP_3) | instskip(NEXT) | instid1(VALU_DEP_3)
	v_add3_u32 v8, v6, v8, 0x7fff
	v_add3_u32 v7, v5, v7, 0x7fff
	s_delay_alu instid0(VALU_DEP_2) | instskip(NEXT) | instid1(VALU_DEP_2)
	v_lshrrev_b32_e32 v8, 16, v8
	v_and_b32_e32 v7, 0xffff0000, v7
	s_delay_alu instid0(VALU_DEP_1) | instskip(NEXT) | instid1(VALU_DEP_1)
	v_cndmask_b32_e64 v5, 0x7fc00000, v7, s0
	v_mul_f32_e32 v7, v5, v9
	s_delay_alu instid0(VALU_DEP_1) | instskip(SKIP_1) | instid1(VALU_DEP_2)
	v_bfe_u32 v5, v7, 16, 1
	v_cmp_o_f32_e64 s0, v7, v7
	v_add3_u32 v9, v7, v5, 0x7fff
	v_add_co_ci_u32_e32 v5, vcc_lo, s8, v1, vcc_lo
	v_cmp_o_f32_e32 vcc_lo, v6, v6
	s_delay_alu instid0(VALU_DEP_3) | instskip(SKIP_2) | instid1(VALU_DEP_3)
	v_and_b32_e32 v9, 0xffff0000, v9
	v_cndmask_b32_e32 v7, 0x7fc0, v8, vcc_lo
	v_add_co_u32 v3, vcc_lo, v3, s9
	v_cndmask_b32_e64 v6, 0x7fc00000, v9, s0
	v_cmp_le_i32_e64 s0, s6, v0
	v_add_co_ci_u32_e32 v1, vcc_lo, 0, v1, vcc_lo
	s_delay_alu instid0(VALU_DEP_3) | instskip(NEXT) | instid1(VALU_DEP_3)
	v_or_b32_e32 v6, v6, v7
	s_or_b32 s1, s0, s1
	global_store_b32 v[4:5], v6, off
	s_and_not1_b32 exec_lo, exec_lo, s1
	s_cbranch_execnz .LBB28_30
.LBB28_31:
	s_nop 0
	s_sendmsg sendmsg(MSG_DEALLOC_VGPRS)
	s_endpgm
.LBB28_32:
                                        ; implicit-def: $sgpr10_sgpr11
	s_branch .LBB28_2
	.section	.rodata,"a",@progbits
	.p2align	6, 0x0
	.amdhsa_kernel _ZN4vllm15rms_norm_kernelIN3c108BFloat16ELi2ELi3EEEvPT_PKS3_lllllS6_fii
		.amdhsa_group_segment_fixed_size 132
		.amdhsa_private_segment_fixed_size 0
		.amdhsa_kernarg_size 336
		.amdhsa_user_sgpr_count 15
		.amdhsa_user_sgpr_dispatch_ptr 0
		.amdhsa_user_sgpr_queue_ptr 0
		.amdhsa_user_sgpr_kernarg_segment_ptr 1
		.amdhsa_user_sgpr_dispatch_id 0
		.amdhsa_user_sgpr_private_segment_size 0
		.amdhsa_wavefront_size32 1
		.amdhsa_uses_dynamic_stack 0
		.amdhsa_enable_private_segment 0
		.amdhsa_system_sgpr_workgroup_id_x 1
		.amdhsa_system_sgpr_workgroup_id_y 0
		.amdhsa_system_sgpr_workgroup_id_z 0
		.amdhsa_system_sgpr_workgroup_info 0
		.amdhsa_system_vgpr_workitem_id 0
		.amdhsa_next_free_vgpr 15
		.amdhsa_next_free_sgpr 24
		.amdhsa_reserve_vcc 1
		.amdhsa_float_round_mode_32 0
		.amdhsa_float_round_mode_16_64 0
		.amdhsa_float_denorm_mode_32 3
		.amdhsa_float_denorm_mode_16_64 3
		.amdhsa_dx10_clamp 1
		.amdhsa_ieee_mode 1
		.amdhsa_fp16_overflow 0
		.amdhsa_workgroup_processor_mode 1
		.amdhsa_memory_ordered 1
		.amdhsa_forward_progress 0
		.amdhsa_shared_vgpr_count 0
		.amdhsa_exception_fp_ieee_invalid_op 0
		.amdhsa_exception_fp_denorm_src 0
		.amdhsa_exception_fp_ieee_div_zero 0
		.amdhsa_exception_fp_ieee_overflow 0
		.amdhsa_exception_fp_ieee_underflow 0
		.amdhsa_exception_fp_ieee_inexact 0
		.amdhsa_exception_int_div_zero 0
	.end_amdhsa_kernel
	.section	.text._ZN4vllm15rms_norm_kernelIN3c108BFloat16ELi2ELi3EEEvPT_PKS3_lllllS6_fii,"axG",@progbits,_ZN4vllm15rms_norm_kernelIN3c108BFloat16ELi2ELi3EEEvPT_PKS3_lllllS6_fii,comdat
.Lfunc_end28:
	.size	_ZN4vllm15rms_norm_kernelIN3c108BFloat16ELi2ELi3EEEvPT_PKS3_lllllS6_fii, .Lfunc_end28-_ZN4vllm15rms_norm_kernelIN3c108BFloat16ELi2ELi3EEEvPT_PKS3_lllllS6_fii
                                        ; -- End function
	.section	.AMDGPU.csdata,"",@progbits
; Kernel info:
; codeLenInByte = 2788
; NumSgprs: 26
; NumVgprs: 15
; ScratchSize: 0
; MemoryBound: 0
; FloatMode: 240
; IeeeMode: 1
; LDSByteSize: 132 bytes/workgroup (compile time only)
; SGPRBlocks: 3
; VGPRBlocks: 1
; NumSGPRsForWavesPerEU: 26
; NumVGPRsForWavesPerEU: 15
; Occupancy: 16
; WaveLimiterHint : 0
; COMPUTE_PGM_RSRC2:SCRATCH_EN: 0
; COMPUTE_PGM_RSRC2:USER_SGPR: 15
; COMPUTE_PGM_RSRC2:TRAP_HANDLER: 0
; COMPUTE_PGM_RSRC2:TGID_X_EN: 1
; COMPUTE_PGM_RSRC2:TGID_Y_EN: 0
; COMPUTE_PGM_RSRC2:TGID_Z_EN: 0
; COMPUTE_PGM_RSRC2:TIDIG_COMP_CNT: 0
	.section	.text._ZN4vllm15rms_norm_kernelIN3c108BFloat16ELi1ELi3EEEvPT_PKS3_lllllS6_fii,"axG",@progbits,_ZN4vllm15rms_norm_kernelIN3c108BFloat16ELi1ELi3EEEvPT_PKS3_lllllS6_fii,comdat
	.protected	_ZN4vllm15rms_norm_kernelIN3c108BFloat16ELi1ELi3EEEvPT_PKS3_lllllS6_fii ; -- Begin function _ZN4vllm15rms_norm_kernelIN3c108BFloat16ELi1ELi3EEEvPT_PKS3_lllllS6_fii
	.globl	_ZN4vllm15rms_norm_kernelIN3c108BFloat16ELi1ELi3EEEvPT_PKS3_lllllS6_fii
	.p2align	8
	.type	_ZN4vllm15rms_norm_kernelIN3c108BFloat16ELi1ELi3EEEvPT_PKS3_lllllS6_fii,@function
_ZN4vllm15rms_norm_kernelIN3c108BFloat16ELi1ELi3EEEvPT_PKS3_lllllS6_fii: ; @_ZN4vllm15rms_norm_kernelIN3c108BFloat16ELi1ELi3EEEvPT_PKS3_lllllS6_fii
; %bb.0:
	s_clause 0x1
	s_load_b64 s[2:3], s[0:1], 0x28
	s_load_b64 s[4:5], s[0:1], 0x8
	s_mov_b32 s6, 0
	s_waitcnt lgkmcnt(0)
	s_mov_b32 s7, s3
	s_delay_alu instid0(SALU_CYCLE_1)
	s_cmp_lg_u64 s[6:7], 0
	s_cbranch_scc0 .LBB29_25
; %bb.1:
	s_ashr_i32 s8, s3, 31
	s_delay_alu instid0(SALU_CYCLE_1) | instskip(SKIP_2) | instid1(SALU_CYCLE_1)
	s_add_u32 s10, s2, s8
	s_mov_b32 s9, s8
	s_addc_u32 s11, s3, s8
	s_xor_b64 s[10:11], s[10:11], s[8:9]
	s_delay_alu instid0(SALU_CYCLE_1) | instskip(SKIP_3) | instid1(VALU_DEP_1)
	v_cvt_f32_u32_e32 v1, s10
	v_cvt_f32_u32_e32 v2, s11
	s_sub_u32 s12, 0, s10
	s_subb_u32 s13, 0, s11
	v_fmamk_f32 v1, v2, 0x4f800000, v1
	s_delay_alu instid0(VALU_DEP_1) | instskip(SKIP_2) | instid1(VALU_DEP_1)
	v_rcp_f32_e32 v1, v1
	s_waitcnt_depctr 0xfff
	v_mul_f32_e32 v1, 0x5f7ffffc, v1
	v_mul_f32_e32 v2, 0x2f800000, v1
	s_delay_alu instid0(VALU_DEP_1) | instskip(NEXT) | instid1(VALU_DEP_1)
	v_trunc_f32_e32 v2, v2
	v_fmamk_f32 v1, v2, 0xcf800000, v1
	v_cvt_u32_f32_e32 v2, v2
	s_delay_alu instid0(VALU_DEP_2) | instskip(NEXT) | instid1(VALU_DEP_2)
	v_cvt_u32_f32_e32 v1, v1
	v_readfirstlane_b32 s3, v2
	s_delay_alu instid0(VALU_DEP_2) | instskip(NEXT) | instid1(VALU_DEP_2)
	v_readfirstlane_b32 s7, v1
	s_mul_i32 s14, s12, s3
	s_delay_alu instid0(VALU_DEP_1)
	s_mul_hi_u32 s17, s12, s7
	s_mul_i32 s16, s13, s7
	s_add_i32 s14, s17, s14
	s_mul_i32 s18, s12, s7
	s_add_i32 s14, s14, s16
	s_mul_hi_u32 s17, s7, s18
	s_mul_hi_u32 s19, s3, s18
	s_mul_i32 s16, s3, s18
	s_mul_hi_u32 s18, s7, s14
	s_mul_i32 s7, s7, s14
	s_mul_hi_u32 s20, s3, s14
	s_add_u32 s7, s17, s7
	s_addc_u32 s17, 0, s18
	s_add_u32 s7, s7, s16
	s_mul_i32 s14, s3, s14
	s_addc_u32 s7, s17, s19
	s_addc_u32 s16, s20, 0
	s_add_u32 s7, s7, s14
	s_addc_u32 s14, 0, s16
	v_add_co_u32 v1, s7, v1, s7
	s_delay_alu instid0(VALU_DEP_1) | instskip(SKIP_1) | instid1(VALU_DEP_1)
	s_cmp_lg_u32 s7, 0
	s_addc_u32 s3, s3, s14
	v_readfirstlane_b32 s7, v1
	s_mul_i32 s14, s12, s3
	s_delay_alu instid0(VALU_DEP_1)
	s_mul_hi_u32 s16, s12, s7
	s_mul_i32 s13, s13, s7
	s_add_i32 s14, s16, s14
	s_mul_i32 s12, s12, s7
	s_add_i32 s14, s14, s13
	s_mul_hi_u32 s16, s3, s12
	s_mul_i32 s17, s3, s12
	s_mul_hi_u32 s12, s7, s12
	s_mul_hi_u32 s18, s7, s14
	s_mul_i32 s7, s7, s14
	s_mul_hi_u32 s13, s3, s14
	s_add_u32 s7, s12, s7
	s_addc_u32 s12, 0, s18
	s_add_u32 s7, s7, s17
	s_mul_i32 s14, s3, s14
	s_addc_u32 s7, s12, s16
	s_addc_u32 s12, s13, 0
	s_add_u32 s7, s7, s14
	s_addc_u32 s12, 0, s12
	v_add_co_u32 v1, s7, v1, s7
	s_delay_alu instid0(VALU_DEP_1) | instskip(SKIP_1) | instid1(VALU_DEP_1)
	s_cmp_lg_u32 s7, 0
	s_addc_u32 s3, s3, s12
	v_readfirstlane_b32 s7, v1
	s_mul_i32 s12, s15, s3
	s_mul_hi_u32 s3, s15, s3
	s_delay_alu instid0(VALU_DEP_1) | instskip(NEXT) | instid1(SALU_CYCLE_1)
	s_mul_hi_u32 s7, s15, s7
	s_add_u32 s7, s7, s12
	s_addc_u32 s3, 0, s3
	s_add_u32 s7, s7, 0
	s_addc_u32 s3, s3, 0
	s_addc_u32 s7, 0, 0
	s_add_u32 s3, s3, 0
	s_addc_u32 s7, 0, s7
	s_mul_hi_u32 s12, s10, s3
	s_mul_i32 s14, s10, s7
	s_mul_i32 s16, s10, s3
	s_add_i32 s12, s12, s14
	v_sub_co_u32 v1, s14, s15, s16
	s_mul_i32 s13, s11, s3
	s_delay_alu instid0(SALU_CYCLE_1) | instskip(NEXT) | instid1(VALU_DEP_1)
	s_add_i32 s12, s12, s13
	v_sub_co_u32 v2, s16, v1, s10
	s_sub_i32 s13, 0, s12
	s_cmp_lg_u32 s14, 0
	s_subb_u32 s13, s13, s11
	s_cmp_lg_u32 s16, 0
	v_readfirstlane_b32 s16, v2
	s_subb_u32 s13, s13, 0
	s_delay_alu instid0(SALU_CYCLE_1) | instskip(SKIP_1) | instid1(VALU_DEP_1)
	s_cmp_ge_u32 s13, s11
	s_cselect_b32 s17, -1, 0
	s_cmp_ge_u32 s16, s10
	s_cselect_b32 s16, -1, 0
	s_cmp_eq_u32 s13, s11
	s_cselect_b32 s13, s16, s17
	s_add_u32 s16, s3, 1
	s_addc_u32 s17, s7, 0
	s_add_u32 s18, s3, 2
	s_addc_u32 s19, s7, 0
	s_cmp_lg_u32 s13, 0
	s_cselect_b32 s13, s18, s16
	s_cselect_b32 s16, s19, s17
	s_cmp_lg_u32 s14, 0
	v_readfirstlane_b32 s14, v1
	s_subb_u32 s12, 0, s12
	s_delay_alu instid0(SALU_CYCLE_1) | instskip(SKIP_1) | instid1(VALU_DEP_1)
	s_cmp_ge_u32 s12, s11
	s_cselect_b32 s17, -1, 0
	s_cmp_ge_u32 s14, s10
	s_cselect_b32 s10, -1, 0
	s_cmp_eq_u32 s12, s11
	s_cselect_b32 s10, s10, s17
	s_delay_alu instid0(SALU_CYCLE_1) | instskip(SKIP_2) | instid1(SALU_CYCLE_1)
	s_cmp_lg_u32 s10, 0
	s_cselect_b32 s11, s16, s7
	s_cselect_b32 s10, s13, s3
	s_xor_b64 s[10:11], s[10:11], s[8:9]
	s_delay_alu instid0(SALU_CYCLE_1)
	s_sub_u32 s10, s10, s8
	s_subb_u32 s11, s11, s8
	s_and_not1_b32 vcc_lo, exec_lo, s6
	s_cbranch_vccnz .LBB29_3
.LBB29_2:
	v_cvt_f32_u32_e32 v1, s2
	s_sub_i32 s6, 0, s2
	s_mov_b32 s11, 0
	s_delay_alu instid0(VALU_DEP_1) | instskip(SKIP_2) | instid1(VALU_DEP_1)
	v_rcp_iflag_f32_e32 v1, v1
	s_waitcnt_depctr 0xfff
	v_mul_f32_e32 v1, 0x4f7ffffe, v1
	v_cvt_u32_f32_e32 v1, v1
	s_delay_alu instid0(VALU_DEP_1) | instskip(NEXT) | instid1(VALU_DEP_1)
	v_readfirstlane_b32 s3, v1
	s_mul_i32 s6, s6, s3
	s_delay_alu instid0(SALU_CYCLE_1) | instskip(NEXT) | instid1(SALU_CYCLE_1)
	s_mul_hi_u32 s6, s3, s6
	s_add_i32 s3, s3, s6
	s_delay_alu instid0(SALU_CYCLE_1) | instskip(NEXT) | instid1(SALU_CYCLE_1)
	s_mul_hi_u32 s3, s15, s3
	s_mul_i32 s6, s3, s2
	s_add_i32 s7, s3, 1
	s_sub_i32 s6, s15, s6
	s_delay_alu instid0(SALU_CYCLE_1)
	s_sub_i32 s8, s6, s2
	s_cmp_ge_u32 s6, s2
	s_cselect_b32 s3, s7, s3
	s_cselect_b32 s6, s8, s6
	s_add_i32 s7, s3, 1
	s_cmp_ge_u32 s6, s2
	s_cselect_b32 s10, s7, s3
.LBB29_3:
	s_load_b128 s[16:19], s[0:1], 0x10
	s_mul_i32 s6, s10, s2
	s_bfe_i64 s[2:3], s[10:11], 0x200000
	s_clause 0x1
	s_load_b32 s11, s[0:1], 0x48
	s_load_b32 s13, s[0:1], 0x5c
	s_sub_i32 s8, s15, s6
	s_waitcnt lgkmcnt(0)
	s_mul_i32 s2, s10, s19
	s_mul_hi_u32 s6, s10, s18
	s_mul_i32 s3, s3, s18
	s_add_i32 s6, s6, s2
	s_mul_i32 s2, s10, s18
	s_add_i32 s3, s6, s3
	s_mul_i32 s9, s8, s17
	s_lshl_b64 s[6:7], s[2:3], 1
	s_mul_hi_u32 s2, s8, s16
	s_add_u32 s10, s4, s6
	s_addc_u32 s12, s5, s7
	s_ashr_i32 s3, s8, 31
	s_add_i32 s9, s2, s9
	s_mul_i32 s3, s3, s16
	s_mul_i32 s2, s8, s16
	s_add_i32 s3, s9, s3
	s_delay_alu instid0(SALU_CYCLE_1) | instskip(NEXT) | instid1(SALU_CYCLE_1)
	s_lshl_b64 s[8:9], s[2:3], 1
	s_add_u32 s10, s10, s8
	s_addc_u32 s12, s12, s9
	s_and_b32 s13, s13, 0xffff
	s_bitcmp1_b32 s10, 0
	s_cselect_b32 s2, -1, 0
	s_delay_alu instid0(SALU_CYCLE_1)
	s_and_b32 vcc_lo, exec_lo, s2
	s_cbranch_vccz .LBB29_9
; %bb.4:
	v_mov_b32_e32 v3, 0
	s_min_i32 s2, s11, 0
	s_mov_b32 s14, 0
	s_sub_i32 s17, s11, s2
	s_mov_b32 s16, exec_lo
	v_cmpx_gt_i32_e64 s17, v0
	s_cbranch_execz .LBB29_8
; %bb.5:
	s_ashr_i32 s3, s2, 31
	s_add_u32 s18, s8, s6
	s_addc_u32 s19, s9, s7
	s_lshl_b64 s[2:3], s[2:3], 1
	v_dual_mov_b32 v4, v0 :: v_dual_lshlrev_b32 v1, 1, v0
	s_add_u32 s2, s18, s2
	s_addc_u32 s3, s19, s3
	s_add_u32 s2, s4, s2
	s_addc_u32 s3, s5, s3
	v_add_co_u32 v1, s2, s2, v1
	s_delay_alu instid0(VALU_DEP_1)
	v_add_co_ci_u32_e64 v2, null, s3, 0, s2
	v_mov_b32_e32 v3, 0
	s_mov_b32 s3, 0
	s_lshl_b32 s18, s13, 1
.LBB29_6:                               ; =>This Inner Loop Header: Depth=1
	global_load_u16 v5, v[1:2], off
	v_add_co_u32 v1, vcc_lo, v1, s18
	v_add_co_ci_u32_e32 v2, vcc_lo, 0, v2, vcc_lo
	s_waitcnt vmcnt(0)
	v_lshlrev_b32_e32 v5, 16, v5
	s_delay_alu instid0(VALU_DEP_1) | instskip(NEXT) | instid1(VALU_DEP_1)
	v_dual_fmac_f32 v3, v5, v5 :: v_dual_add_nc_u32 v4, s13, v4
	v_cmp_le_i32_e64 s2, s17, v4
	s_delay_alu instid0(VALU_DEP_1) | instskip(NEXT) | instid1(SALU_CYCLE_1)
	s_or_b32 s3, s2, s3
	s_and_not1_b32 exec_lo, exec_lo, s3
	s_cbranch_execnz .LBB29_6
; %bb.7:
	s_or_b32 exec_lo, exec_lo, s3
.LBB29_8:
	s_delay_alu instid0(SALU_CYCLE_1)
	s_or_b32 exec_lo, exec_lo, s16
	v_cmp_gt_i32_e64 s2, s11, v0
	s_and_not1_b32 vcc_lo, exec_lo, s14
	s_cbranch_vccz .LBB29_10
	s_branch .LBB29_15
.LBB29_9:
                                        ; implicit-def: $vgpr3
	v_cmp_gt_i32_e64 s2, s11, v0
.LBB29_10:
	v_mov_b32_e32 v3, 0
	s_delay_alu instid0(VALU_DEP_2)
	s_and_saveexec_b32 s3, s2
	s_cbranch_execz .LBB29_14
; %bb.11:
	v_dual_mov_b32 v4, v0 :: v_dual_lshlrev_b32 v1, 1, v0
	s_add_u32 s2, s8, s6
	s_addc_u32 s6, s9, s7
	s_add_u32 s2, s4, s2
	s_addc_u32 s4, s5, s6
	v_add_co_u32 v1, s2, s2, v1
	s_delay_alu instid0(VALU_DEP_1)
	v_add_co_ci_u32_e64 v2, null, s4, 0, s2
	v_mov_b32_e32 v3, 0
	s_mov_b32 s4, 0
	s_lshl_b32 s5, s13, 1
.LBB29_12:                              ; =>This Inner Loop Header: Depth=1
	global_load_u16 v5, v[1:2], off
	v_add_co_u32 v1, vcc_lo, v1, s5
	v_add_co_ci_u32_e32 v2, vcc_lo, 0, v2, vcc_lo
	s_waitcnt vmcnt(0)
	v_lshlrev_b32_e32 v5, 16, v5
	s_delay_alu instid0(VALU_DEP_1) | instskip(NEXT) | instid1(VALU_DEP_1)
	v_dual_fmac_f32 v3, v5, v5 :: v_dual_add_nc_u32 v4, s13, v4
	v_cmp_le_i32_e64 s2, s11, v4
	s_delay_alu instid0(VALU_DEP_1) | instskip(NEXT) | instid1(SALU_CYCLE_1)
	s_or_b32 s4, s2, s4
	s_and_not1_b32 exec_lo, exec_lo, s4
	s_cbranch_execnz .LBB29_12
; %bb.13:
	s_or_b32 exec_lo, exec_lo, s4
.LBB29_14:
	s_delay_alu instid0(SALU_CYCLE_1)
	s_or_b32 exec_lo, exec_lo, s3
.LBB29_15:
	v_mbcnt_lo_u32_b32 v1, -1, 0
	s_mov_b32 s2, exec_lo
	s_delay_alu instid0(VALU_DEP_1) | instskip(SKIP_2) | instid1(VALU_DEP_2)
	v_cmp_ne_u32_e32 vcc_lo, 31, v1
	v_add_co_ci_u32_e32 v2, vcc_lo, 0, v1, vcc_lo
	v_cmp_gt_u32_e32 vcc_lo, 30, v1
	v_lshlrev_b32_e32 v2, 2, v2
	v_cndmask_b32_e64 v6, 0, 1, vcc_lo
	ds_bpermute_b32 v5, v2, v3
	s_waitcnt lgkmcnt(0)
	v_dual_add_f32 v7, v3, v5 :: v_dual_and_b32 v4, 0x3e0, v0
	s_delay_alu instid0(VALU_DEP_1) | instskip(SKIP_1) | instid1(VALU_DEP_1)
	v_sub_nc_u32_e64 v12, s13, v4 clamp
	v_add_nc_u32_e32 v4, 1, v1
	v_cmp_lt_u32_e32 vcc_lo, v4, v12
	s_delay_alu instid0(VALU_DEP_4) | instskip(SKIP_2) | instid1(VALU_DEP_1)
	v_cndmask_b32_e32 v7, v3, v7, vcc_lo
	v_cmp_gt_u32_e32 vcc_lo, 28, v1
	v_cndmask_b32_e64 v3, 0, 1, vcc_lo
	v_lshlrev_b32_e32 v8, 2, v3
	v_add_nc_u32_e32 v3, 2, v1
	s_delay_alu instid0(VALU_DEP_1) | instskip(SKIP_1) | instid1(VALU_DEP_1)
	v_cmp_lt_u32_e32 vcc_lo, v3, v12
	v_lshlrev_b32_e32 v6, 1, v6
	v_add_lshl_u32 v5, v6, v1, 2
	ds_bpermute_b32 v6, v5, v7
	s_waitcnt lgkmcnt(0)
	v_add_f32_e32 v9, v7, v6
	v_add_lshl_u32 v6, v8, v1, 2
	s_delay_alu instid0(VALU_DEP_2) | instskip(SKIP_3) | instid1(VALU_DEP_1)
	v_cndmask_b32_e32 v9, v7, v9, vcc_lo
	v_cmp_gt_u32_e32 vcc_lo, 24, v1
	ds_bpermute_b32 v8, v6, v9
	v_cndmask_b32_e64 v7, 0, 1, vcc_lo
	v_lshlrev_b32_e32 v10, 3, v7
	v_add_nc_u32_e32 v7, 4, v1
	s_delay_alu instid0(VALU_DEP_1) | instskip(SKIP_3) | instid1(VALU_DEP_2)
	v_cmp_lt_u32_e32 vcc_lo, v7, v12
	s_waitcnt lgkmcnt(0)
	v_add_f32_e32 v11, v9, v8
	v_add_lshl_u32 v8, v10, v1, 2
	v_cndmask_b32_e32 v11, v9, v11, vcc_lo
	v_cmp_gt_u32_e32 vcc_lo, 16, v1
	ds_bpermute_b32 v10, v8, v11
	v_cndmask_b32_e64 v9, 0, 1, vcc_lo
	s_delay_alu instid0(VALU_DEP_1) | instskip(SKIP_1) | instid1(VALU_DEP_1)
	v_lshlrev_b32_e32 v13, 4, v9
	v_add_nc_u32_e32 v9, 8, v1
	v_cmp_lt_u32_e32 vcc_lo, v9, v12
	s_waitcnt lgkmcnt(0)
	v_add_f32_e32 v14, v11, v10
	v_add_lshl_u32 v10, v13, v1, 2
	s_delay_alu instid0(VALU_DEP_2)
	v_cndmask_b32_e32 v13, v11, v14, vcc_lo
	v_add_nc_u32_e32 v11, 16, v1
	ds_bpermute_b32 v14, v10, v13
	v_cmp_lt_u32_e32 vcc_lo, v11, v12
	s_waitcnt lgkmcnt(0)
	v_add_f32_e32 v14, v13, v14
	s_delay_alu instid0(VALU_DEP_1)
	v_cndmask_b32_e32 v12, v13, v14, vcc_lo
	v_cmpx_eq_u32_e32 0, v1
	s_cbranch_execz .LBB29_17
; %bb.16:
	v_lshrrev_b32_e32 v13, 3, v0
	s_delay_alu instid0(VALU_DEP_1)
	v_and_b32_e32 v13, 0x7c, v13
	ds_store_b32 v13, v12
.LBB29_17:
	s_or_b32 exec_lo, exec_lo, s2
	s_delay_alu instid0(SALU_CYCLE_1)
	s_mov_b32 s2, exec_lo
	s_waitcnt lgkmcnt(0)
	s_barrier
	buffer_gl0_inv
	v_cmpx_gt_u32_e32 32, v0
	s_cbranch_execz .LBB29_19
; %bb.18:
	v_lshlrev_b32_e32 v1, 2, v1
	s_add_i32 s3, s13, 31
	s_delay_alu instid0(SALU_CYCLE_1) | instskip(NEXT) | instid1(SALU_CYCLE_1)
	s_lshr_b32 s3, s3, 5
	v_cmp_gt_u32_e32 vcc_lo, s3, v4
	ds_load_b32 v1, v1
	s_waitcnt lgkmcnt(0)
	ds_bpermute_b32 v2, v2, v1
	s_waitcnt lgkmcnt(0)
	v_add_f32_e32 v2, v1, v2
	s_delay_alu instid0(VALU_DEP_1) | instskip(SKIP_4) | instid1(VALU_DEP_1)
	v_cndmask_b32_e32 v1, v1, v2, vcc_lo
	v_cmp_gt_u32_e32 vcc_lo, s3, v3
	ds_bpermute_b32 v2, v5, v1
	s_waitcnt lgkmcnt(0)
	v_add_f32_e32 v2, v1, v2
	v_cndmask_b32_e32 v1, v1, v2, vcc_lo
	v_cmp_gt_u32_e32 vcc_lo, s3, v7
	ds_bpermute_b32 v2, v6, v1
	s_waitcnt lgkmcnt(0)
	v_add_f32_e32 v2, v1, v2
	s_delay_alu instid0(VALU_DEP_1) | instskip(SKIP_4) | instid1(VALU_DEP_1)
	v_cndmask_b32_e32 v1, v1, v2, vcc_lo
	v_cmp_gt_u32_e32 vcc_lo, s3, v9
	ds_bpermute_b32 v2, v8, v1
	s_waitcnt lgkmcnt(0)
	v_add_f32_e32 v2, v1, v2
	v_cndmask_b32_e32 v1, v1, v2, vcc_lo
	v_cmp_gt_u32_e32 vcc_lo, s3, v11
	ds_bpermute_b32 v2, v10, v1
	s_waitcnt lgkmcnt(0)
	v_add_f32_e32 v2, v1, v2
	s_delay_alu instid0(VALU_DEP_1)
	v_cndmask_b32_e32 v12, v1, v2, vcc_lo
.LBB29_19:
	s_or_b32 exec_lo, exec_lo, s2
	s_delay_alu instid0(SALU_CYCLE_1)
	s_mov_b32 s2, exec_lo
	v_cmpx_eq_u32_e32 0, v0
	s_cbranch_execz .LBB29_21
; %bb.20:
	v_cvt_f32_i32_e32 v1, s11
	s_load_b32 s3, s[0:1], 0x40
	s_delay_alu instid0(VALU_DEP_1) | instskip(SKIP_1) | instid1(VALU_DEP_2)
	v_div_scale_f32 v2, null, v1, v1, v12
	v_div_scale_f32 v5, vcc_lo, v12, v1, v12
	v_rcp_f32_e32 v3, v2
	s_waitcnt_depctr 0xfff
	v_fma_f32 v4, -v2, v3, 1.0
	s_delay_alu instid0(VALU_DEP_1) | instskip(NEXT) | instid1(VALU_DEP_1)
	v_fmac_f32_e32 v3, v4, v3
	v_mul_f32_e32 v4, v5, v3
	s_delay_alu instid0(VALU_DEP_1) | instskip(NEXT) | instid1(VALU_DEP_1)
	v_fma_f32 v6, -v2, v4, v5
	v_fmac_f32_e32 v4, v6, v3
	s_delay_alu instid0(VALU_DEP_1) | instskip(NEXT) | instid1(VALU_DEP_1)
	v_fma_f32 v2, -v2, v4, v5
	v_div_fmas_f32 v2, v2, v3, v4
	s_delay_alu instid0(VALU_DEP_1) | instskip(SKIP_1) | instid1(VALU_DEP_1)
	v_div_fixup_f32 v1, v2, v1, v12
	s_waitcnt lgkmcnt(0)
	v_add_f32_e32 v1, s3, v1
	s_delay_alu instid0(VALU_DEP_1) | instskip(SKIP_1) | instid1(VALU_DEP_2)
	v_mul_f32_e32 v2, 0x4b800000, v1
	v_cmp_gt_f32_e32 vcc_lo, 0x800000, v1
	v_cndmask_b32_e32 v1, v1, v2, vcc_lo
	s_delay_alu instid0(VALU_DEP_1) | instskip(SKIP_2) | instid1(VALU_DEP_1)
	v_rsq_f32_e32 v1, v1
	s_waitcnt_depctr 0xfff
	v_mul_f32_e32 v2, 0x45800000, v1
	v_dual_cndmask_b32 v1, v1, v2 :: v_dual_mov_b32 v2, 0
	ds_store_b32 v2, v1 offset:128
.LBB29_21:
	s_or_b32 exec_lo, exec_lo, s2
	s_waitcnt lgkmcnt(0)
	s_barrier
	buffer_gl0_inv
	s_mov_b32 s2, exec_lo
	v_cmpx_gt_i32_e64 s11, v0
	s_cbranch_execz .LBB29_24
; %bb.22:
	v_mov_b32_e32 v1, 0
	s_clause 0x1
	s_load_b64 s[4:5], s[0:1], 0x0
	s_load_b64 s[2:3], s[0:1], 0x38
	s_mul_i32 s0, s15, s11
	s_mov_b32 s1, 0
	s_delay_alu instid0(SALU_CYCLE_1)
	s_lshl_b64 s[6:7], s[0:1], 1
	ds_load_b32 v2, v1 offset:128
	s_waitcnt lgkmcnt(0)
	s_add_u32 s4, s4, s6
	s_addc_u32 s5, s5, s7
.LBB29_23:                              ; =>This Inner Loop Header: Depth=1
	v_ashrrev_i32_e32 v1, 31, v0
	s_delay_alu instid0(VALU_DEP_1) | instskip(SKIP_1) | instid1(VALU_DEP_2)
	v_lshlrev_b64 v[3:4], 1, v[0:1]
	v_add_nc_u32_e32 v0, s13, v0
	v_add_co_u32 v5, vcc_lo, s10, v3
	s_delay_alu instid0(VALU_DEP_3)
	v_add_co_ci_u32_e32 v6, vcc_lo, s12, v4, vcc_lo
	global_load_u16 v1, v[5:6], off
	v_add_co_u32 v5, vcc_lo, s2, v3
	v_add_co_ci_u32_e32 v6, vcc_lo, s3, v4, vcc_lo
	global_load_u16 v5, v[5:6], off
	s_waitcnt vmcnt(1)
	v_lshlrev_b32_e32 v1, 16, v1
	s_delay_alu instid0(VALU_DEP_1) | instskip(SKIP_2) | instid1(VALU_DEP_2)
	v_mul_f32_e32 v1, v2, v1
	s_waitcnt vmcnt(0)
	v_lshlrev_b32_e32 v5, 16, v5
	v_bfe_u32 v6, v1, 16, 1
	s_delay_alu instid0(VALU_DEP_1) | instskip(NEXT) | instid1(VALU_DEP_1)
	v_add3_u32 v6, v1, v6, 0x7fff
	v_and_b32_e32 v6, 0xffff0000, v6
	v_cmp_o_f32_e32 vcc_lo, v1, v1
	s_delay_alu instid0(VALU_DEP_2) | instskip(SKIP_1) | instid1(VALU_DEP_2)
	v_cndmask_b32_e32 v1, 0x7fc00000, v6, vcc_lo
	v_cmp_le_i32_e32 vcc_lo, s11, v0
	v_mul_f32_e32 v1, v1, v5
	s_or_b32 s1, vcc_lo, s1
	s_delay_alu instid0(VALU_DEP_1) | instskip(SKIP_1) | instid1(VALU_DEP_2)
	v_bfe_u32 v5, v1, 16, 1
	v_cmp_o_f32_e64 s0, v1, v1
	v_add3_u32 v5, v1, v5, 0x7fff
	s_delay_alu instid0(VALU_DEP_1) | instskip(NEXT) | instid1(VALU_DEP_1)
	v_lshrrev_b32_e32 v5, 16, v5
	v_cndmask_b32_e64 v1, 0x7fc0, v5, s0
	v_add_co_u32 v3, s0, s4, v3
	s_delay_alu instid0(VALU_DEP_1)
	v_add_co_ci_u32_e64 v4, s0, s5, v4, s0
	global_store_b16 v[3:4], v1, off
	s_and_not1_b32 exec_lo, exec_lo, s1
	s_cbranch_execnz .LBB29_23
.LBB29_24:
	s_nop 0
	s_sendmsg sendmsg(MSG_DEALLOC_VGPRS)
	s_endpgm
.LBB29_25:
                                        ; implicit-def: $sgpr10_sgpr11
	s_branch .LBB29_2
	.section	.rodata,"a",@progbits
	.p2align	6, 0x0
	.amdhsa_kernel _ZN4vllm15rms_norm_kernelIN3c108BFloat16ELi1ELi3EEEvPT_PKS3_lllllS6_fii
		.amdhsa_group_segment_fixed_size 132
		.amdhsa_private_segment_fixed_size 0
		.amdhsa_kernarg_size 336
		.amdhsa_user_sgpr_count 15
		.amdhsa_user_sgpr_dispatch_ptr 0
		.amdhsa_user_sgpr_queue_ptr 0
		.amdhsa_user_sgpr_kernarg_segment_ptr 1
		.amdhsa_user_sgpr_dispatch_id 0
		.amdhsa_user_sgpr_private_segment_size 0
		.amdhsa_wavefront_size32 1
		.amdhsa_uses_dynamic_stack 0
		.amdhsa_enable_private_segment 0
		.amdhsa_system_sgpr_workgroup_id_x 1
		.amdhsa_system_sgpr_workgroup_id_y 0
		.amdhsa_system_sgpr_workgroup_id_z 0
		.amdhsa_system_sgpr_workgroup_info 0
		.amdhsa_system_vgpr_workitem_id 0
		.amdhsa_next_free_vgpr 15
		.amdhsa_next_free_sgpr 21
		.amdhsa_reserve_vcc 1
		.amdhsa_float_round_mode_32 0
		.amdhsa_float_round_mode_16_64 0
		.amdhsa_float_denorm_mode_32 3
		.amdhsa_float_denorm_mode_16_64 3
		.amdhsa_dx10_clamp 1
		.amdhsa_ieee_mode 1
		.amdhsa_fp16_overflow 0
		.amdhsa_workgroup_processor_mode 1
		.amdhsa_memory_ordered 1
		.amdhsa_forward_progress 0
		.amdhsa_shared_vgpr_count 0
		.amdhsa_exception_fp_ieee_invalid_op 0
		.amdhsa_exception_fp_denorm_src 0
		.amdhsa_exception_fp_ieee_div_zero 0
		.amdhsa_exception_fp_ieee_overflow 0
		.amdhsa_exception_fp_ieee_underflow 0
		.amdhsa_exception_fp_ieee_inexact 0
		.amdhsa_exception_int_div_zero 0
	.end_amdhsa_kernel
	.section	.text._ZN4vllm15rms_norm_kernelIN3c108BFloat16ELi1ELi3EEEvPT_PKS3_lllllS6_fii,"axG",@progbits,_ZN4vllm15rms_norm_kernelIN3c108BFloat16ELi1ELi3EEEvPT_PKS3_lllllS6_fii,comdat
.Lfunc_end29:
	.size	_ZN4vllm15rms_norm_kernelIN3c108BFloat16ELi1ELi3EEEvPT_PKS3_lllllS6_fii, .Lfunc_end29-_ZN4vllm15rms_norm_kernelIN3c108BFloat16ELi1ELi3EEEvPT_PKS3_lllllS6_fii
                                        ; -- End function
	.section	.AMDGPU.csdata,"",@progbits
; Kernel info:
; codeLenInByte = 2336
; NumSgprs: 23
; NumVgprs: 15
; ScratchSize: 0
; MemoryBound: 0
; FloatMode: 240
; IeeeMode: 1
; LDSByteSize: 132 bytes/workgroup (compile time only)
; SGPRBlocks: 2
; VGPRBlocks: 1
; NumSGPRsForWavesPerEU: 23
; NumVGPRsForWavesPerEU: 15
; Occupancy: 16
; WaveLimiterHint : 0
; COMPUTE_PGM_RSRC2:SCRATCH_EN: 0
; COMPUTE_PGM_RSRC2:USER_SGPR: 15
; COMPUTE_PGM_RSRC2:TRAP_HANDLER: 0
; COMPUTE_PGM_RSRC2:TGID_X_EN: 1
; COMPUTE_PGM_RSRC2:TGID_Y_EN: 0
; COMPUTE_PGM_RSRC2:TGID_Z_EN: 0
; COMPUTE_PGM_RSRC2:TIDIG_COMP_CNT: 0
	.section	.text._ZN4vllm15rms_norm_kernelIfLi16ELi4EEEvPT_PKS1_lllllS4_fii,"axG",@progbits,_ZN4vllm15rms_norm_kernelIfLi16ELi4EEEvPT_PKS1_lllllS4_fii,comdat
	.protected	_ZN4vllm15rms_norm_kernelIfLi16ELi4EEEvPT_PKS1_lllllS4_fii ; -- Begin function _ZN4vllm15rms_norm_kernelIfLi16ELi4EEEvPT_PKS1_lllllS4_fii
	.globl	_ZN4vllm15rms_norm_kernelIfLi16ELi4EEEvPT_PKS1_lllllS4_fii
	.p2align	8
	.type	_ZN4vllm15rms_norm_kernelIfLi16ELi4EEEvPT_PKS1_lllllS4_fii,@function
_ZN4vllm15rms_norm_kernelIfLi16ELi4EEEvPT_PKS1_lllllS4_fii: ; @_ZN4vllm15rms_norm_kernelIfLi16ELi4EEEvPT_PKS1_lllllS4_fii
; %bb.0:
	s_clause 0x1
	s_load_b256 s[4:11], s[0:1], 0x10
	s_load_b64 s[2:3], s[0:1], 0x30
	s_waitcnt lgkmcnt(0)
	s_mul_i32 s12, s2, s11
	s_mul_hi_u32 s13, s2, s10
	s_mul_i32 s3, s3, s10
	s_add_i32 s13, s13, s12
	s_mov_b32 s12, 0
	s_add_i32 s13, s13, s3
	s_mul_i32 s14, s2, s10
	s_cmp_lg_u64 s[12:13], 0
	s_cbranch_scc0 .LBB30_36
; %bb.1:
	s_ashr_i32 s16, s13, 31
	s_delay_alu instid0(SALU_CYCLE_1) | instskip(SKIP_2) | instid1(SALU_CYCLE_1)
	s_add_u32 s2, s14, s16
	s_mov_b32 s17, s16
	s_addc_u32 s3, s13, s16
	s_xor_b64 s[2:3], s[2:3], s[16:17]
	s_delay_alu instid0(SALU_CYCLE_1) | instskip(SKIP_3) | instid1(VALU_DEP_1)
	v_cvt_f32_u32_e32 v1, s2
	v_cvt_f32_u32_e32 v2, s3
	s_sub_u32 s19, 0, s2
	s_subb_u32 s20, 0, s3
	v_fmamk_f32 v1, v2, 0x4f800000, v1
	s_delay_alu instid0(VALU_DEP_1) | instskip(SKIP_2) | instid1(VALU_DEP_1)
	v_rcp_f32_e32 v1, v1
	s_waitcnt_depctr 0xfff
	v_mul_f32_e32 v1, 0x5f7ffffc, v1
	v_mul_f32_e32 v2, 0x2f800000, v1
	s_delay_alu instid0(VALU_DEP_1) | instskip(NEXT) | instid1(VALU_DEP_1)
	v_trunc_f32_e32 v2, v2
	v_fmamk_f32 v1, v2, 0xcf800000, v1
	v_cvt_u32_f32_e32 v2, v2
	s_delay_alu instid0(VALU_DEP_2) | instskip(NEXT) | instid1(VALU_DEP_2)
	v_cvt_u32_f32_e32 v1, v1
	v_readfirstlane_b32 s13, v2
	s_delay_alu instid0(VALU_DEP_2) | instskip(NEXT) | instid1(VALU_DEP_2)
	v_readfirstlane_b32 s18, v1
	s_mul_i32 s21, s19, s13
	s_delay_alu instid0(VALU_DEP_1)
	s_mul_hi_u32 s23, s19, s18
	s_mul_i32 s22, s20, s18
	s_add_i32 s21, s23, s21
	s_mul_i32 s24, s19, s18
	s_add_i32 s21, s21, s22
	s_mul_hi_u32 s23, s18, s24
	s_mul_hi_u32 s25, s13, s24
	s_mul_i32 s22, s13, s24
	s_mul_hi_u32 s24, s18, s21
	s_mul_i32 s18, s18, s21
	s_mul_hi_u32 s26, s13, s21
	s_add_u32 s18, s23, s18
	s_addc_u32 s23, 0, s24
	s_add_u32 s18, s18, s22
	s_mul_i32 s21, s13, s21
	s_addc_u32 s18, s23, s25
	s_addc_u32 s22, s26, 0
	s_add_u32 s18, s18, s21
	s_addc_u32 s21, 0, s22
	v_add_co_u32 v1, s18, v1, s18
	s_delay_alu instid0(VALU_DEP_1) | instskip(SKIP_1) | instid1(VALU_DEP_1)
	s_cmp_lg_u32 s18, 0
	s_addc_u32 s13, s13, s21
	v_readfirstlane_b32 s18, v1
	s_mul_i32 s21, s19, s13
	s_delay_alu instid0(VALU_DEP_1)
	s_mul_hi_u32 s22, s19, s18
	s_mul_i32 s20, s20, s18
	s_add_i32 s21, s22, s21
	s_mul_i32 s19, s19, s18
	s_add_i32 s21, s21, s20
	s_mul_hi_u32 s22, s13, s19
	s_mul_i32 s23, s13, s19
	s_mul_hi_u32 s19, s18, s19
	s_mul_hi_u32 s24, s18, s21
	s_mul_i32 s18, s18, s21
	s_mul_hi_u32 s20, s13, s21
	s_add_u32 s18, s19, s18
	s_addc_u32 s19, 0, s24
	s_add_u32 s18, s18, s23
	s_mul_i32 s21, s13, s21
	s_addc_u32 s18, s19, s22
	s_addc_u32 s19, s20, 0
	s_add_u32 s18, s18, s21
	s_addc_u32 s19, 0, s19
	v_add_co_u32 v1, s18, v1, s18
	s_delay_alu instid0(VALU_DEP_1) | instskip(SKIP_1) | instid1(VALU_DEP_1)
	s_cmp_lg_u32 s18, 0
	s_addc_u32 s13, s13, s19
	v_readfirstlane_b32 s18, v1
	s_mul_i32 s19, s15, s13
	s_mul_hi_u32 s13, s15, s13
	s_delay_alu instid0(VALU_DEP_1) | instskip(NEXT) | instid1(SALU_CYCLE_1)
	s_mul_hi_u32 s18, s15, s18
	s_add_u32 s18, s18, s19
	s_addc_u32 s13, 0, s13
	s_add_u32 s18, s18, 0
	s_addc_u32 s13, s13, 0
	s_addc_u32 s18, 0, 0
	s_add_u32 s13, s13, 0
	s_addc_u32 s18, 0, s18
	s_mul_hi_u32 s19, s2, s13
	s_mul_i32 s21, s2, s18
	s_mul_i32 s22, s2, s13
	s_add_i32 s19, s19, s21
	v_sub_co_u32 v1, s21, s15, s22
	s_mul_i32 s20, s3, s13
	s_delay_alu instid0(SALU_CYCLE_1) | instskip(NEXT) | instid1(VALU_DEP_1)
	s_add_i32 s19, s19, s20
	v_sub_co_u32 v2, s22, v1, s2
	s_sub_i32 s20, 0, s19
	s_cmp_lg_u32 s21, 0
	s_subb_u32 s20, s20, s3
	s_cmp_lg_u32 s22, 0
	v_readfirstlane_b32 s22, v2
	s_subb_u32 s20, s20, 0
	s_delay_alu instid0(SALU_CYCLE_1) | instskip(SKIP_1) | instid1(VALU_DEP_1)
	s_cmp_ge_u32 s20, s3
	s_cselect_b32 s23, -1, 0
	s_cmp_ge_u32 s22, s2
	s_cselect_b32 s22, -1, 0
	s_cmp_eq_u32 s20, s3
	s_cselect_b32 s20, s22, s23
	s_add_u32 s22, s13, 1
	s_addc_u32 s23, s18, 0
	s_add_u32 s24, s13, 2
	s_addc_u32 s25, s18, 0
	s_cmp_lg_u32 s20, 0
	s_cselect_b32 s20, s24, s22
	s_cselect_b32 s22, s25, s23
	s_cmp_lg_u32 s21, 0
	v_readfirstlane_b32 s21, v1
	s_subb_u32 s19, 0, s19
	s_delay_alu instid0(SALU_CYCLE_1) | instskip(SKIP_1) | instid1(VALU_DEP_1)
	s_cmp_ge_u32 s19, s3
	s_cselect_b32 s23, -1, 0
	s_cmp_ge_u32 s21, s2
	s_cselect_b32 s2, -1, 0
	s_cmp_eq_u32 s19, s3
	s_cselect_b32 s2, s2, s23
	s_delay_alu instid0(SALU_CYCLE_1) | instskip(SKIP_2) | instid1(SALU_CYCLE_1)
	s_cmp_lg_u32 s2, 0
	s_cselect_b32 s3, s22, s18
	s_cselect_b32 s2, s20, s13
	s_xor_b64 s[2:3], s[2:3], s[16:17]
	s_delay_alu instid0(SALU_CYCLE_1)
	s_sub_u32 s2, s2, s16
	s_subb_u32 s3, s3, s16
	s_and_not1_b32 vcc_lo, exec_lo, s12
	s_cbranch_vccnz .LBB30_3
.LBB30_2:
	v_cvt_f32_u32_e32 v1, s14
	s_sub_i32 s3, 0, s14
	s_delay_alu instid0(VALU_DEP_1) | instskip(SKIP_2) | instid1(VALU_DEP_1)
	v_rcp_iflag_f32_e32 v1, v1
	s_waitcnt_depctr 0xfff
	v_mul_f32_e32 v1, 0x4f7ffffe, v1
	v_cvt_u32_f32_e32 v1, v1
	s_delay_alu instid0(VALU_DEP_1) | instskip(NEXT) | instid1(VALU_DEP_1)
	v_readfirstlane_b32 s2, v1
	s_mul_i32 s3, s3, s2
	s_delay_alu instid0(SALU_CYCLE_1) | instskip(NEXT) | instid1(SALU_CYCLE_1)
	s_mul_hi_u32 s3, s2, s3
	s_add_i32 s2, s2, s3
	s_delay_alu instid0(SALU_CYCLE_1) | instskip(NEXT) | instid1(SALU_CYCLE_1)
	s_mul_hi_u32 s2, s15, s2
	s_mul_i32 s3, s2, s14
	s_add_i32 s12, s2, 1
	s_sub_i32 s3, s15, s3
	s_delay_alu instid0(SALU_CYCLE_1)
	s_sub_i32 s13, s3, s14
	s_cmp_ge_u32 s3, s14
	s_cselect_b32 s2, s12, s2
	s_cselect_b32 s3, s13, s3
	s_add_i32 s12, s2, 1
	s_cmp_ge_u32 s3, s14
	s_mov_b32 s3, 0
	s_cselect_b32 s2, s12, s2
.LBB30_3:
	s_load_b64 s[12:13], s[0:1], 0x8
	s_mul_i32 s14, s2, s14
	s_delay_alu instid0(SALU_CYCLE_1) | instskip(NEXT) | instid1(SALU_CYCLE_1)
	s_sub_i32 s16, s15, s14
	s_ashr_i32 s17, s16, 31
	s_delay_alu instid0(SALU_CYCLE_1) | instskip(SKIP_1) | instid1(SALU_CYCLE_1)
	s_or_b64 s[18:19], s[16:17], s[10:11]
	s_mov_b32 s18, 0
	s_cmp_lg_u64 s[18:19], 0
	s_cbranch_scc0 .LBB30_37
; %bb.4:
	s_ashr_i32 s20, s11, 31
	s_delay_alu instid0(SALU_CYCLE_1) | instskip(SKIP_2) | instid1(SALU_CYCLE_1)
	s_add_u32 s22, s10, s20
	s_mov_b32 s21, s20
	s_addc_u32 s23, s11, s20
	s_xor_b64 s[22:23], s[22:23], s[20:21]
	s_delay_alu instid0(SALU_CYCLE_1) | instskip(SKIP_3) | instid1(VALU_DEP_1)
	v_cvt_f32_u32_e32 v1, s22
	v_cvt_f32_u32_e32 v2, s23
	s_sub_u32 s25, 0, s22
	s_subb_u32 s26, 0, s23
	v_fmamk_f32 v1, v2, 0x4f800000, v1
	s_delay_alu instid0(VALU_DEP_1) | instskip(SKIP_2) | instid1(VALU_DEP_1)
	v_rcp_f32_e32 v1, v1
	s_waitcnt_depctr 0xfff
	v_mul_f32_e32 v1, 0x5f7ffffc, v1
	v_mul_f32_e32 v2, 0x2f800000, v1
	s_delay_alu instid0(VALU_DEP_1) | instskip(NEXT) | instid1(VALU_DEP_1)
	v_trunc_f32_e32 v2, v2
	v_fmamk_f32 v1, v2, 0xcf800000, v1
	v_cvt_u32_f32_e32 v2, v2
	s_delay_alu instid0(VALU_DEP_2) | instskip(NEXT) | instid1(VALU_DEP_2)
	v_cvt_u32_f32_e32 v1, v1
	v_readfirstlane_b32 s14, v2
	s_delay_alu instid0(VALU_DEP_2) | instskip(NEXT) | instid1(VALU_DEP_2)
	v_readfirstlane_b32 s19, v1
	s_mul_i32 s24, s25, s14
	s_delay_alu instid0(VALU_DEP_1)
	s_mul_hi_u32 s28, s25, s19
	s_mul_i32 s27, s26, s19
	s_add_i32 s24, s28, s24
	s_mul_i32 s29, s25, s19
	s_add_i32 s24, s24, s27
	s_mul_hi_u32 s28, s19, s29
	s_mul_hi_u32 s30, s14, s29
	s_mul_i32 s27, s14, s29
	s_mul_hi_u32 s29, s19, s24
	s_mul_i32 s19, s19, s24
	s_mul_hi_u32 s31, s14, s24
	s_add_u32 s19, s28, s19
	s_addc_u32 s28, 0, s29
	s_add_u32 s19, s19, s27
	s_mul_i32 s24, s14, s24
	s_addc_u32 s19, s28, s30
	s_addc_u32 s27, s31, 0
	s_add_u32 s19, s19, s24
	s_addc_u32 s24, 0, s27
	v_add_co_u32 v1, s19, v1, s19
	s_delay_alu instid0(VALU_DEP_1) | instskip(SKIP_1) | instid1(VALU_DEP_1)
	s_cmp_lg_u32 s19, 0
	s_addc_u32 s14, s14, s24
	v_readfirstlane_b32 s19, v1
	s_mul_i32 s27, s25, s14
	s_mov_b32 s24, s17
	s_delay_alu instid0(VALU_DEP_1)
	s_mul_hi_u32 s28, s25, s19
	s_mul_i32 s26, s26, s19
	s_add_i32 s27, s28, s27
	s_mul_i32 s25, s25, s19
	s_add_i32 s27, s27, s26
	s_mul_hi_u32 s28, s14, s25
	s_mul_i32 s29, s14, s25
	s_mul_hi_u32 s25, s19, s25
	s_mul_hi_u32 s30, s19, s27
	s_mul_i32 s19, s19, s27
	s_mul_hi_u32 s26, s14, s27
	s_add_u32 s19, s25, s19
	s_addc_u32 s25, 0, s30
	s_add_u32 s19, s19, s29
	s_mul_i32 s27, s14, s27
	s_addc_u32 s19, s25, s28
	s_addc_u32 s25, s26, 0
	s_add_u32 s19, s19, s27
	s_addc_u32 s26, 0, s25
	v_add_co_u32 v1, s19, v1, s19
	s_delay_alu instid0(VALU_DEP_1)
	s_cmp_lg_u32 s19, 0
	s_mov_b32 s25, s17
	s_addc_u32 s14, s14, s26
	s_add_u32 s26, s16, s17
	v_readfirstlane_b32 s19, v1
	s_addc_u32 s27, s17, s17
	s_delay_alu instid0(SALU_CYCLE_1) | instskip(NEXT) | instid1(SALU_CYCLE_1)
	s_xor_b64 s[26:27], s[26:27], s[24:25]
	s_mul_i32 s29, s26, s14
	s_delay_alu instid0(VALU_DEP_1)
	s_mul_hi_u32 s30, s26, s19
	s_mul_hi_u32 s28, s26, s14
	;; [unrolled: 1-line block ×3, first 2 shown]
	s_mul_i32 s19, s27, s19
	s_add_u32 s29, s30, s29
	s_addc_u32 s28, 0, s28
	s_mul_hi_u32 s31, s27, s14
	s_add_u32 s19, s29, s19
	s_mul_i32 s14, s27, s14
	s_addc_u32 s19, s28, s33
	s_addc_u32 s28, s31, 0
	s_add_u32 s14, s19, s14
	s_addc_u32 s19, 0, s28
	s_mul_i32 s31, s22, s14
	s_mul_hi_u32 s28, s22, s14
	s_mul_i32 s30, s22, s19
	v_sub_co_u32 v1, s26, s26, s31
	s_mul_i32 s29, s23, s14
	s_add_i32 s28, s28, s30
	s_delay_alu instid0(SALU_CYCLE_1) | instskip(NEXT) | instid1(VALU_DEP_1)
	s_add_i32 s28, s28, s29
	v_sub_co_u32 v2, s30, v1, s22
	s_sub_i32 s29, s27, s28
	s_cmp_lg_u32 s26, 0
	s_subb_u32 s29, s29, s23
	s_cmp_lg_u32 s30, 0
	v_readfirstlane_b32 s30, v2
	s_subb_u32 s29, s29, 0
	s_delay_alu instid0(SALU_CYCLE_1) | instskip(SKIP_1) | instid1(VALU_DEP_1)
	s_cmp_ge_u32 s29, s23
	s_cselect_b32 s31, -1, 0
	s_cmp_ge_u32 s30, s22
	s_cselect_b32 s30, -1, 0
	s_cmp_eq_u32 s29, s23
	s_cselect_b32 s29, s30, s31
	s_add_u32 s30, s14, 1
	s_addc_u32 s31, s19, 0
	s_add_u32 s33, s14, 2
	s_addc_u32 s34, s19, 0
	s_cmp_lg_u32 s29, 0
	s_cselect_b32 s29, s33, s30
	s_cselect_b32 s30, s34, s31
	s_cmp_lg_u32 s26, 0
	v_readfirstlane_b32 s26, v1
	s_subb_u32 s27, s27, s28
	s_delay_alu instid0(SALU_CYCLE_1) | instskip(SKIP_1) | instid1(VALU_DEP_1)
	s_cmp_ge_u32 s27, s23
	s_cselect_b32 s28, -1, 0
	s_cmp_ge_u32 s26, s22
	s_cselect_b32 s22, -1, 0
	s_cmp_eq_u32 s27, s23
	s_cselect_b32 s22, s22, s28
	s_delay_alu instid0(SALU_CYCLE_1) | instskip(SKIP_3) | instid1(SALU_CYCLE_1)
	s_cmp_lg_u32 s22, 0
	s_cselect_b32 s23, s30, s19
	s_cselect_b32 s22, s29, s14
	s_xor_b64 s[20:21], s[24:25], s[20:21]
	s_xor_b64 s[22:23], s[22:23], s[20:21]
	s_delay_alu instid0(SALU_CYCLE_1)
	s_sub_u32 s20, s22, s20
	s_subb_u32 s21, s23, s21
	s_and_not1_b32 vcc_lo, exec_lo, s18
	s_cbranch_vccnz .LBB30_6
.LBB30_5:
	v_cvt_f32_u32_e32 v1, s10
	s_sub_i32 s18, 0, s10
	s_mov_b32 s21, 0
	s_delay_alu instid0(VALU_DEP_1) | instskip(SKIP_2) | instid1(VALU_DEP_1)
	v_rcp_iflag_f32_e32 v1, v1
	s_waitcnt_depctr 0xfff
	v_mul_f32_e32 v1, 0x4f7ffffe, v1
	v_cvt_u32_f32_e32 v1, v1
	s_delay_alu instid0(VALU_DEP_1) | instskip(NEXT) | instid1(VALU_DEP_1)
	v_readfirstlane_b32 s14, v1
	s_mul_i32 s18, s18, s14
	s_delay_alu instid0(SALU_CYCLE_1) | instskip(NEXT) | instid1(SALU_CYCLE_1)
	s_mul_hi_u32 s18, s14, s18
	s_add_i32 s14, s14, s18
	s_delay_alu instid0(SALU_CYCLE_1) | instskip(NEXT) | instid1(SALU_CYCLE_1)
	s_mul_hi_u32 s14, s16, s14
	s_mul_i32 s18, s14, s10
	s_add_i32 s19, s14, 1
	s_sub_i32 s18, s16, s18
	s_delay_alu instid0(SALU_CYCLE_1)
	s_sub_i32 s20, s18, s10
	s_cmp_ge_u32 s18, s10
	s_cselect_b32 s14, s19, s14
	s_cselect_b32 s18, s20, s18
	s_add_i32 s19, s14, 1
	s_cmp_ge_u32 s18, s10
	s_cselect_b32 s20, s19, s14
.LBB30_6:
	s_delay_alu instid0(SALU_CYCLE_1)
	s_mul_i32 s11, s20, s11
	s_mul_hi_u32 s14, s20, s10
	s_mul_i32 s9, s2, s9
	s_add_i32 s11, s14, s11
	s_mul_i32 s14, s21, s10
	s_mul_i32 s10, s20, s10
	s_add_i32 s11, s11, s14
	s_sub_u32 s14, s16, s10
	s_subb_u32 s16, s17, s11
	s_mul_hi_u32 s17, s2, s8
	s_bfe_i64 s[10:11], s[2:3], 0x200000
	s_add_i32 s3, s17, s9
	s_mul_i32 s9, s11, s8
	s_mul_i32 s2, s2, s8
	s_add_i32 s3, s3, s9
	s_mul_i32 s7, s20, s7
	s_lshl_b64 s[8:9], s[2:3], 2
	s_mul_hi_u32 s17, s20, s6
	s_waitcnt lgkmcnt(0)
	s_add_u32 s10, s12, s8
	s_addc_u32 s11, s13, s9
	s_bfe_i64 s[2:3], s[20:21], 0x200000
	s_add_i32 s2, s17, s7
	s_mul_i32 s3, s3, s6
	s_load_b32 s17, s[0:1], 0x5c
	s_add_i32 s3, s2, s3
	s_mul_i32 s2, s20, s6
	s_mul_i32 s5, s14, s5
	s_lshl_b64 s[6:7], s[2:3], 2
	s_load_b32 s3, s[0:1], 0x48
	s_add_u32 s2, s10, s6
	s_mul_hi_u32 s10, s14, s4
	s_addc_u32 s11, s11, s7
	s_add_i32 s5, s10, s5
	s_mul_i32 s16, s16, s4
	s_mul_i32 s4, s14, s4
	s_add_i32 s5, s5, s16
	s_delay_alu instid0(SALU_CYCLE_1) | instskip(NEXT) | instid1(SALU_CYCLE_1)
	s_lshl_b64 s[4:5], s[4:5], 2
	s_add_u32 s14, s2, s4
	s_addc_u32 s16, s11, s5
	s_and_b32 s10, s14, 63
	s_mov_b32 s11, 0
	s_waitcnt lgkmcnt(0)
	s_and_b32 s17, s17, 0xffff
	s_cmp_lg_u64 s[10:11], 0
	s_cselect_b32 s2, -1, 0
	s_and_b32 s10, s3, 15
	s_delay_alu instid0(SALU_CYCLE_1) | instskip(SKIP_1) | instid1(SALU_CYCLE_1)
	s_cmp_lg_u32 s10, 0
	s_cselect_b32 s10, -1, 0
	s_or_b32 s2, s10, s2
	s_delay_alu instid0(SALU_CYCLE_1)
	s_and_b32 vcc_lo, exec_lo, s2
	s_cbranch_vccz .LBB30_20
; %bb.7:
	s_sub_i32 s2, 0, s14
	v_mov_b32_e32 v4, 0
	s_bfe_u32 s2, s2, 0x40002
	s_mov_b32 s11, exec_lo
	s_min_i32 s10, s2, s3
	s_delay_alu instid0(SALU_CYCLE_1)
	v_cmpx_gt_i32_e64 s10, v0
	s_cbranch_execz .LBB30_11
; %bb.8:
	s_add_u32 s2, s4, s8
	s_addc_u32 s18, s5, s9
	v_dual_mov_b32 v4, 0 :: v_dual_lshlrev_b32 v1, 2, v0
	s_add_u32 s2, s2, s6
	s_addc_u32 s18, s18, s7
	s_add_u32 s2, s12, s2
	s_addc_u32 s18, s13, s18
	v_add_co_u32 v1, s2, s2, v1
	s_delay_alu instid0(VALU_DEP_1)
	v_add_co_ci_u32_e64 v2, null, s18, 0, s2
	v_mov_b32_e32 v3, v0
	s_mov_b32 s18, 0
	s_lshl_b32 s19, s17, 2
.LBB30_9:                               ; =>This Inner Loop Header: Depth=1
	global_load_b32 v5, v[1:2], off
	v_add_nc_u32_e32 v3, s17, v3
	v_add_co_u32 v1, vcc_lo, v1, s19
	v_add_co_ci_u32_e32 v2, vcc_lo, 0, v2, vcc_lo
	s_waitcnt vmcnt(0)
	v_fmac_f32_e32 v4, v5, v5
	v_cmp_le_i32_e64 s2, s10, v3
	s_delay_alu instid0(VALU_DEP_1) | instskip(NEXT) | instid1(SALU_CYCLE_1)
	s_or_b32 s18, s2, s18
	s_and_not1_b32 exec_lo, exec_lo, s18
	s_cbranch_execnz .LBB30_9
; %bb.10:
	s_or_b32 exec_lo, exec_lo, s18
.LBB30_11:
	s_delay_alu instid0(SALU_CYCLE_1)
	s_or_b32 exec_lo, exec_lo, s11
	s_sub_i32 s18, s3, s10
	s_ashr_i32 s11, s10, 31
	s_ashr_i32 s2, s18, 31
	s_mov_b32 s20, exec_lo
	s_lshr_b32 s2, s2, 28
	s_delay_alu instid0(SALU_CYCLE_1) | instskip(NEXT) | instid1(SALU_CYCLE_1)
	s_add_i32 s2, s18, s2
	s_ashr_i32 s19, s2, 4
	s_delay_alu instid0(SALU_CYCLE_1)
	v_cmpx_gt_i32_e64 s19, v0
	s_cbranch_execz .LBB30_15
; %bb.12:
	s_add_u32 s2, s4, s8
	s_addc_u32 s21, s5, s9
	s_add_u32 s2, s2, s6
	s_addc_u32 s21, s21, s7
	s_lshl_b64 s[22:23], s[10:11], 2
	v_lshlrev_b32_e32 v1, 6, v0
	s_add_u32 s22, s12, s22
	s_addc_u32 s23, s13, s23
	s_add_u32 s2, s22, s2
	s_addc_u32 s21, s23, s21
	v_add_co_u32 v1, s2, s2, v1
	s_delay_alu instid0(VALU_DEP_1)
	v_add_co_ci_u32_e64 v2, null, s21, 0, s2
	v_mov_b32_e32 v3, v0
	s_mov_b32 s21, 0
	s_lshl_b32 s22, s17, 6
	s_set_inst_prefetch_distance 0x1
	.p2align	6
.LBB30_13:                              ; =>This Inner Loop Header: Depth=1
	s_clause 0x3
	global_load_b128 v[5:8], v[1:2], off
	global_load_b128 v[9:12], v[1:2], off offset:16
	global_load_b128 v[13:16], v[1:2], off offset:32
	global_load_b128 v[17:20], v[1:2], off offset:48
	v_add_co_u32 v1, vcc_lo, v1, s22
	v_add_co_ci_u32_e32 v2, vcc_lo, 0, v2, vcc_lo
	v_add_nc_u32_e32 v3, s17, v3
	s_delay_alu instid0(VALU_DEP_1) | instskip(NEXT) | instid1(VALU_DEP_1)
	v_cmp_le_i32_e64 s2, s19, v3
	s_or_b32 s21, s2, s21
	s_waitcnt vmcnt(3)
	v_fmac_f32_e32 v4, v5, v5
	s_delay_alu instid0(VALU_DEP_1) | instskip(NEXT) | instid1(VALU_DEP_1)
	v_fmac_f32_e32 v4, v6, v6
	v_fmac_f32_e32 v4, v7, v7
	s_delay_alu instid0(VALU_DEP_1) | instskip(SKIP_1) | instid1(VALU_DEP_1)
	v_fmac_f32_e32 v4, v8, v8
	s_waitcnt vmcnt(2)
	v_fmac_f32_e32 v4, v9, v9
	s_delay_alu instid0(VALU_DEP_1) | instskip(NEXT) | instid1(VALU_DEP_1)
	v_fmac_f32_e32 v4, v10, v10
	v_fmac_f32_e32 v4, v11, v11
	s_delay_alu instid0(VALU_DEP_1) | instskip(SKIP_1) | instid1(VALU_DEP_1)
	v_fmac_f32_e32 v4, v12, v12
	;; [unrolled: 7-line block ×3, first 2 shown]
	s_waitcnt vmcnt(0)
	v_fmac_f32_e32 v4, v17, v17
	s_delay_alu instid0(VALU_DEP_1) | instskip(NEXT) | instid1(VALU_DEP_1)
	v_fmac_f32_e32 v4, v18, v18
	v_fmac_f32_e32 v4, v19, v19
	s_delay_alu instid0(VALU_DEP_1)
	v_fmac_f32_e32 v4, v20, v20
	s_and_not1_b32 exec_lo, exec_lo, s21
	s_cbranch_execnz .LBB30_13
; %bb.14:
	s_set_inst_prefetch_distance 0x2
	s_or_b32 exec_lo, exec_lo, s21
.LBB30_15:
	s_delay_alu instid0(SALU_CYCLE_1) | instskip(SKIP_2) | instid1(VALU_DEP_1)
	s_or_b32 exec_lo, exec_lo, s20
	v_lshl_add_u32 v1, s19, 4, v0
	s_mov_b32 s19, exec_lo
	v_cmpx_gt_i32_e64 s18, v1
	s_cbranch_execz .LBB30_19
; %bb.16:
	v_ashrrev_i32_e32 v2, 31, v1
	s_add_u32 s2, s4, s8
	s_addc_u32 s20, s5, s9
	s_add_u32 s2, s2, s6
	s_addc_u32 s20, s20, s7
	s_lshl_b64 s[10:11], s[10:11], 2
	v_lshlrev_b64 v[2:3], 2, v[1:2]
	s_add_u32 s2, s2, s10
	s_addc_u32 s10, s20, s11
	s_add_u32 s2, s12, s2
	s_addc_u32 s10, s13, s10
	s_lshl_b32 s11, s17, 2
	v_add_co_u32 v2, vcc_lo, s2, v2
	v_add_co_ci_u32_e32 v3, vcc_lo, s10, v3, vcc_lo
	s_mov_b32 s10, 0
.LBB30_17:                              ; =>This Inner Loop Header: Depth=1
	global_load_b32 v5, v[2:3], off
	v_add_nc_u32_e32 v1, s17, v1
	v_add_co_u32 v2, vcc_lo, v2, s11
	v_add_co_ci_u32_e32 v3, vcc_lo, 0, v3, vcc_lo
	s_delay_alu instid0(VALU_DEP_3) | instskip(NEXT) | instid1(VALU_DEP_1)
	v_cmp_le_i32_e64 s2, s18, v1
	s_or_b32 s10, s2, s10
	s_waitcnt vmcnt(0)
	v_fmac_f32_e32 v4, v5, v5
	s_and_not1_b32 exec_lo, exec_lo, s10
	s_cbranch_execnz .LBB30_17
; %bb.18:
	s_or_b32 exec_lo, exec_lo, s10
.LBB30_19:
	s_delay_alu instid0(SALU_CYCLE_1)
	s_or_b32 exec_lo, exec_lo, s19
	s_branch .LBB30_26
.LBB30_20:
                                        ; implicit-def: $vgpr4
	s_cbranch_execz .LBB30_26
; %bb.21:
	v_mov_b32_e32 v4, 0
	s_ashr_i32 s11, s3, 4
	s_mov_b32 s10, exec_lo
	v_cmpx_gt_i32_e64 s11, v0
	s_cbranch_execz .LBB30_25
; %bb.22:
	s_add_u32 s2, s4, s8
	s_addc_u32 s4, s5, s9
	v_dual_mov_b32 v4, 0 :: v_dual_lshlrev_b32 v1, 6, v0
	s_add_u32 s2, s2, s6
	s_addc_u32 s4, s4, s7
	s_add_u32 s2, s12, s2
	s_addc_u32 s4, s13, s4
	v_add_co_u32 v1, s2, s2, v1
	s_delay_alu instid0(VALU_DEP_1)
	v_add_co_ci_u32_e64 v2, null, s4, 0, s2
	v_mov_b32_e32 v3, v0
	s_mov_b32 s4, 0
	s_lshl_b32 s5, s17, 6
	s_set_inst_prefetch_distance 0x1
	.p2align	6
.LBB30_23:                              ; =>This Inner Loop Header: Depth=1
	s_clause 0x3
	global_load_b128 v[5:8], v[1:2], off
	global_load_b128 v[9:12], v[1:2], off offset:16
	global_load_b128 v[13:16], v[1:2], off offset:32
	;; [unrolled: 1-line block ×3, first 2 shown]
	v_add_co_u32 v1, vcc_lo, v1, s5
	v_add_co_ci_u32_e32 v2, vcc_lo, 0, v2, vcc_lo
	v_add_nc_u32_e32 v3, s17, v3
	s_delay_alu instid0(VALU_DEP_1) | instskip(NEXT) | instid1(VALU_DEP_1)
	v_cmp_le_i32_e64 s2, s11, v3
	s_or_b32 s4, s2, s4
	s_waitcnt vmcnt(3)
	v_fmac_f32_e32 v4, v5, v5
	s_delay_alu instid0(VALU_DEP_1) | instskip(NEXT) | instid1(VALU_DEP_1)
	v_fmac_f32_e32 v4, v6, v6
	v_fmac_f32_e32 v4, v7, v7
	s_delay_alu instid0(VALU_DEP_1) | instskip(SKIP_1) | instid1(VALU_DEP_1)
	v_fmac_f32_e32 v4, v8, v8
	s_waitcnt vmcnt(2)
	v_fmac_f32_e32 v4, v9, v9
	s_delay_alu instid0(VALU_DEP_1) | instskip(NEXT) | instid1(VALU_DEP_1)
	v_fmac_f32_e32 v4, v10, v10
	v_fmac_f32_e32 v4, v11, v11
	s_delay_alu instid0(VALU_DEP_1) | instskip(SKIP_1) | instid1(VALU_DEP_1)
	v_fmac_f32_e32 v4, v12, v12
	;; [unrolled: 7-line block ×3, first 2 shown]
	s_waitcnt vmcnt(0)
	v_fmac_f32_e32 v4, v17, v17
	s_delay_alu instid0(VALU_DEP_1) | instskip(NEXT) | instid1(VALU_DEP_1)
	v_fmac_f32_e32 v4, v18, v18
	v_fmac_f32_e32 v4, v19, v19
	s_delay_alu instid0(VALU_DEP_1)
	v_fmac_f32_e32 v4, v20, v20
	s_and_not1_b32 exec_lo, exec_lo, s4
	s_cbranch_execnz .LBB30_23
; %bb.24:
	s_set_inst_prefetch_distance 0x2
	s_or_b32 exec_lo, exec_lo, s4
.LBB30_25:
	s_delay_alu instid0(SALU_CYCLE_1)
	s_or_b32 exec_lo, exec_lo, s10
.LBB30_26:
	v_mbcnt_lo_u32_b32 v1, -1, 0
	v_and_b32_e32 v3, 0x3e0, v0
	s_mov_b32 s2, exec_lo
	s_delay_alu instid0(VALU_DEP_2) | instskip(NEXT) | instid1(VALU_DEP_2)
	v_cmp_ne_u32_e32 vcc_lo, 31, v1
	v_sub_nc_u32_e64 v12, s17, v3 clamp
	v_add_nc_u32_e32 v3, 1, v1
	v_add_co_ci_u32_e32 v2, vcc_lo, 0, v1, vcc_lo
	v_cmp_gt_u32_e32 vcc_lo, 30, v1
	s_delay_alu instid0(VALU_DEP_2)
	v_lshlrev_b32_e32 v2, 2, v2
	v_cndmask_b32_e64 v6, 0, 1, vcc_lo
	v_cmp_lt_u32_e32 vcc_lo, v3, v12
	ds_bpermute_b32 v5, v2, v4
	s_waitcnt lgkmcnt(0)
	v_dual_add_f32 v7, v4, v5 :: v_dual_lshlrev_b32 v6, 1, v6
	s_delay_alu instid0(VALU_DEP_1) | instskip(NEXT) | instid1(VALU_DEP_2)
	v_cndmask_b32_e32 v7, v4, v7, vcc_lo
	v_add_lshl_u32 v5, v6, v1, 2
	v_cmp_gt_u32_e32 vcc_lo, 28, v1
	ds_bpermute_b32 v6, v5, v7
	v_cndmask_b32_e64 v4, 0, 1, vcc_lo
	s_delay_alu instid0(VALU_DEP_1) | instskip(SKIP_1) | instid1(VALU_DEP_1)
	v_lshlrev_b32_e32 v8, 2, v4
	v_add_nc_u32_e32 v4, 2, v1
	v_cmp_lt_u32_e32 vcc_lo, v4, v12
	s_waitcnt lgkmcnt(0)
	v_add_f32_e32 v9, v7, v6
	v_add_lshl_u32 v6, v8, v1, 2
	s_delay_alu instid0(VALU_DEP_2) | instskip(SKIP_2) | instid1(VALU_DEP_1)
	v_cndmask_b32_e32 v9, v7, v9, vcc_lo
	v_cmp_gt_u32_e32 vcc_lo, 24, v1
	v_cndmask_b32_e64 v7, 0, 1, vcc_lo
	v_lshlrev_b32_e32 v10, 3, v7
	ds_bpermute_b32 v8, v6, v9
	v_add_nc_u32_e32 v7, 4, v1
	s_delay_alu instid0(VALU_DEP_1) | instskip(SKIP_3) | instid1(VALU_DEP_2)
	v_cmp_lt_u32_e32 vcc_lo, v7, v12
	s_waitcnt lgkmcnt(0)
	v_add_f32_e32 v11, v9, v8
	v_add_lshl_u32 v8, v10, v1, 2
	v_cndmask_b32_e32 v11, v9, v11, vcc_lo
	v_cmp_gt_u32_e32 vcc_lo, 16, v1
	ds_bpermute_b32 v10, v8, v11
	v_cndmask_b32_e64 v9, 0, 1, vcc_lo
	s_delay_alu instid0(VALU_DEP_1) | instskip(SKIP_1) | instid1(VALU_DEP_1)
	v_lshlrev_b32_e32 v13, 4, v9
	v_add_nc_u32_e32 v9, 8, v1
	v_cmp_lt_u32_e32 vcc_lo, v9, v12
	s_waitcnt lgkmcnt(0)
	v_add_f32_e32 v14, v11, v10
	v_add_lshl_u32 v10, v13, v1, 2
	s_delay_alu instid0(VALU_DEP_2)
	v_cndmask_b32_e32 v13, v11, v14, vcc_lo
	v_add_nc_u32_e32 v11, 16, v1
	ds_bpermute_b32 v14, v10, v13
	v_cmp_lt_u32_e32 vcc_lo, v11, v12
	s_waitcnt lgkmcnt(0)
	v_add_f32_e32 v14, v13, v14
	s_delay_alu instid0(VALU_DEP_1)
	v_cndmask_b32_e32 v12, v13, v14, vcc_lo
	v_cmpx_eq_u32_e32 0, v1
	s_cbranch_execz .LBB30_28
; %bb.27:
	v_lshrrev_b32_e32 v13, 3, v0
	s_delay_alu instid0(VALU_DEP_1)
	v_and_b32_e32 v13, 0x7c, v13
	ds_store_b32 v13, v12
.LBB30_28:
	s_or_b32 exec_lo, exec_lo, s2
	s_delay_alu instid0(SALU_CYCLE_1)
	s_mov_b32 s2, exec_lo
	s_waitcnt lgkmcnt(0)
	s_barrier
	buffer_gl0_inv
	v_cmpx_gt_u32_e32 32, v0
	s_cbranch_execz .LBB30_30
; %bb.29:
	v_lshlrev_b32_e32 v1, 2, v1
	s_add_i32 s4, s17, 31
	s_delay_alu instid0(SALU_CYCLE_1) | instskip(NEXT) | instid1(SALU_CYCLE_1)
	s_lshr_b32 s4, s4, 5
	v_cmp_gt_u32_e32 vcc_lo, s4, v3
	ds_load_b32 v1, v1
	s_waitcnt lgkmcnt(0)
	ds_bpermute_b32 v2, v2, v1
	s_waitcnt lgkmcnt(0)
	v_add_f32_e32 v2, v1, v2
	s_delay_alu instid0(VALU_DEP_1) | instskip(SKIP_4) | instid1(VALU_DEP_1)
	v_cndmask_b32_e32 v1, v1, v2, vcc_lo
	v_cmp_gt_u32_e32 vcc_lo, s4, v4
	ds_bpermute_b32 v2, v5, v1
	s_waitcnt lgkmcnt(0)
	v_add_f32_e32 v2, v1, v2
	v_cndmask_b32_e32 v1, v1, v2, vcc_lo
	v_cmp_gt_u32_e32 vcc_lo, s4, v7
	ds_bpermute_b32 v2, v6, v1
	s_waitcnt lgkmcnt(0)
	v_add_f32_e32 v2, v1, v2
	s_delay_alu instid0(VALU_DEP_1) | instskip(SKIP_4) | instid1(VALU_DEP_1)
	v_cndmask_b32_e32 v1, v1, v2, vcc_lo
	v_cmp_gt_u32_e32 vcc_lo, s4, v9
	ds_bpermute_b32 v2, v8, v1
	s_waitcnt lgkmcnt(0)
	v_add_f32_e32 v2, v1, v2
	v_cndmask_b32_e32 v1, v1, v2, vcc_lo
	v_cmp_gt_u32_e32 vcc_lo, s4, v11
	ds_bpermute_b32 v2, v10, v1
	s_waitcnt lgkmcnt(0)
	v_add_f32_e32 v2, v1, v2
	s_delay_alu instid0(VALU_DEP_1)
	v_cndmask_b32_e32 v12, v1, v2, vcc_lo
.LBB30_30:
	s_or_b32 exec_lo, exec_lo, s2
	s_delay_alu instid0(SALU_CYCLE_1)
	s_mov_b32 s2, exec_lo
	v_cmpx_eq_u32_e32 0, v0
	s_cbranch_execz .LBB30_32
; %bb.31:
	v_cvt_f32_i32_e32 v1, s3
	s_load_b32 s4, s[0:1], 0x40
	s_delay_alu instid0(VALU_DEP_1) | instskip(SKIP_1) | instid1(VALU_DEP_2)
	v_div_scale_f32 v2, null, v1, v1, v12
	v_div_scale_f32 v5, vcc_lo, v12, v1, v12
	v_rcp_f32_e32 v3, v2
	s_waitcnt_depctr 0xfff
	v_fma_f32 v4, -v2, v3, 1.0
	s_delay_alu instid0(VALU_DEP_1) | instskip(NEXT) | instid1(VALU_DEP_1)
	v_fmac_f32_e32 v3, v4, v3
	v_mul_f32_e32 v4, v5, v3
	s_delay_alu instid0(VALU_DEP_1) | instskip(NEXT) | instid1(VALU_DEP_1)
	v_fma_f32 v6, -v2, v4, v5
	v_fmac_f32_e32 v4, v6, v3
	s_delay_alu instid0(VALU_DEP_1) | instskip(NEXT) | instid1(VALU_DEP_1)
	v_fma_f32 v2, -v2, v4, v5
	v_div_fmas_f32 v2, v2, v3, v4
	s_delay_alu instid0(VALU_DEP_1) | instskip(SKIP_1) | instid1(VALU_DEP_1)
	v_div_fixup_f32 v1, v2, v1, v12
	s_waitcnt lgkmcnt(0)
	v_add_f32_e32 v1, s4, v1
	s_delay_alu instid0(VALU_DEP_1) | instskip(SKIP_1) | instid1(VALU_DEP_2)
	v_mul_f32_e32 v2, 0x4b800000, v1
	v_cmp_gt_f32_e32 vcc_lo, 0x800000, v1
	v_cndmask_b32_e32 v1, v1, v2, vcc_lo
	s_delay_alu instid0(VALU_DEP_1) | instskip(SKIP_2) | instid1(VALU_DEP_1)
	v_rsq_f32_e32 v1, v1
	s_waitcnt_depctr 0xfff
	v_mul_f32_e32 v2, 0x45800000, v1
	v_dual_cndmask_b32 v1, v1, v2 :: v_dual_mov_b32 v2, 0
	ds_store_b32 v2, v1 offset:128
.LBB30_32:
	s_or_b32 exec_lo, exec_lo, s2
	s_ashr_i32 s2, s3, 31
	s_waitcnt lgkmcnt(0)
	s_lshr_b32 s2, s2, 28
	s_barrier
	s_add_i32 s2, s3, s2
	buffer_gl0_inv
	s_ashr_i32 s4, s2, 4
	s_mov_b32 s2, exec_lo
	v_cmpx_gt_i32_e64 s4, v0
	s_cbranch_execz .LBB30_35
; %bb.33:
	v_dual_mov_b32 v1, 0 :: v_dual_lshlrev_b32 v2, 6, v0
	s_clause 0x1
	s_load_b64 s[6:7], s[0:1], 0x0
	s_load_b64 s[0:1], s[0:1], 0x38
	s_mul_i32 s2, s15, s3
	s_mov_b32 s3, 0
	ds_load_b32 v1, v1 offset:128
	s_lshl_b64 s[8:9], s[2:3], 2
	s_waitcnt lgkmcnt(0)
	s_add_u32 s2, s6, s8
	s_addc_u32 s5, s7, s9
	s_lshl_b32 s6, s17, 6
.LBB30_34:                              ; =>This Inner Loop Header: Depth=1
	v_add_co_u32 v15, s7, s14, v2
	s_delay_alu instid0(VALU_DEP_1) | instskip(SKIP_1) | instid1(VALU_DEP_1)
	v_add_co_ci_u32_e64 v16, null, s16, 0, s7
	v_add_co_u32 v31, s7, s0, v2
	v_add_co_ci_u32_e64 v32, null, s1, 0, s7
	s_clause 0x3
	global_load_b128 v[3:6], v[15:16], off
	global_load_b128 v[7:10], v[15:16], off offset:16
	global_load_b128 v[11:14], v[15:16], off offset:32
	;; [unrolled: 1-line block ×3, first 2 shown]
	s_clause 0x3
	global_load_b128 v[19:22], v[31:32], off
	global_load_b128 v[23:26], v[31:32], off offset:16
	global_load_b128 v[27:30], v[31:32], off offset:32
	;; [unrolled: 1-line block ×3, first 2 shown]
	v_add_nc_u32_e32 v0, s17, v0
	v_add_co_u32 v35, s7, s2, v2
	s_add_u32 s2, s2, s6
	v_add_co_ci_u32_e64 v36, null, s5, 0, s7
	s_addc_u32 s5, s5, 0
	s_add_u32 s14, s14, s6
	s_addc_u32 s16, s16, 0
	s_add_u32 s0, s0, s6
	s_addc_u32 s1, s1, 0
	s_waitcnt vmcnt(7)
	v_mul_f32_e32 v3, v3, v1
	v_mul_f32_e32 v4, v4, v1
	s_waitcnt vmcnt(5)
	v_mul_f32_e32 v14, v14, v1
	s_waitcnt vmcnt(4)
	v_mul_f32_e32 v15, v15, v1
	v_mul_f32_e32 v7, v7, v1
	s_waitcnt vmcnt(3)
	v_dual_mul_f32 v6, v6, v1 :: v_dual_mul_f32 v3, v3, v19
	s_waitcnt vmcnt(1)
	v_mul_f32_e32 v14, v14, v30
	s_waitcnt vmcnt(0)
	v_dual_mul_f32 v10, v10, v1 :: v_dual_mul_f32 v15, v15, v31
	v_mul_f32_e32 v11, v11, v1
	v_dual_mul_f32 v5, v5, v1 :: v_dual_mul_f32 v4, v4, v20
	s_delay_alu instid0(VALU_DEP_3) | instskip(NEXT) | instid1(VALU_DEP_3)
	v_mul_f32_e32 v10, v10, v26
	v_dual_mul_f32 v8, v8, v1 :: v_dual_mul_f32 v11, v11, v27
	v_mul_f32_e32 v9, v9, v1
	v_mul_f32_e32 v12, v12, v1
	;; [unrolled: 1-line block ×3, first 2 shown]
	v_cmp_le_i32_e32 vcc_lo, s4, v0
	v_mul_f32_e32 v16, v16, v1
	v_mul_f32_e32 v17, v17, v1
	;; [unrolled: 1-line block ×4, first 2 shown]
	v_dual_mul_f32 v7, v7, v23 :: v_dual_mul_f32 v6, v6, v22
	v_mul_f32_e32 v8, v8, v24
	s_delay_alu instid0(VALU_DEP_4)
	v_dual_mul_f32 v18, v18, v34 :: v_dual_mul_f32 v9, v9, v25
	v_dual_mul_f32 v12, v12, v28 :: v_dual_mul_f32 v13, v13, v29
	;; [unrolled: 1-line block ×3, first 2 shown]
	s_or_b32 s3, vcc_lo, s3
	s_clause 0x3
	global_store_b128 v[35:36], v[3:6], off
	global_store_b128 v[35:36], v[7:10], off offset:16
	global_store_b128 v[35:36], v[11:14], off offset:32
	global_store_b128 v[35:36], v[15:18], off offset:48
	s_and_not1_b32 exec_lo, exec_lo, s3
	s_cbranch_execnz .LBB30_34
.LBB30_35:
	s_nop 0
	s_sendmsg sendmsg(MSG_DEALLOC_VGPRS)
	s_endpgm
.LBB30_36:
                                        ; implicit-def: $sgpr2_sgpr3
	s_branch .LBB30_2
.LBB30_37:
                                        ; implicit-def: $sgpr20_sgpr21
	s_branch .LBB30_5
	.section	.rodata,"a",@progbits
	.p2align	6, 0x0
	.amdhsa_kernel _ZN4vllm15rms_norm_kernelIfLi16ELi4EEEvPT_PKS1_lllllS4_fii
		.amdhsa_group_segment_fixed_size 132
		.amdhsa_private_segment_fixed_size 0
		.amdhsa_kernarg_size 336
		.amdhsa_user_sgpr_count 15
		.amdhsa_user_sgpr_dispatch_ptr 0
		.amdhsa_user_sgpr_queue_ptr 0
		.amdhsa_user_sgpr_kernarg_segment_ptr 1
		.amdhsa_user_sgpr_dispatch_id 0
		.amdhsa_user_sgpr_private_segment_size 0
		.amdhsa_wavefront_size32 1
		.amdhsa_uses_dynamic_stack 0
		.amdhsa_enable_private_segment 0
		.amdhsa_system_sgpr_workgroup_id_x 1
		.amdhsa_system_sgpr_workgroup_id_y 0
		.amdhsa_system_sgpr_workgroup_id_z 0
		.amdhsa_system_sgpr_workgroup_info 0
		.amdhsa_system_vgpr_workitem_id 0
		.amdhsa_next_free_vgpr 37
		.amdhsa_next_free_sgpr 35
		.amdhsa_reserve_vcc 1
		.amdhsa_float_round_mode_32 0
		.amdhsa_float_round_mode_16_64 0
		.amdhsa_float_denorm_mode_32 3
		.amdhsa_float_denorm_mode_16_64 3
		.amdhsa_dx10_clamp 1
		.amdhsa_ieee_mode 1
		.amdhsa_fp16_overflow 0
		.amdhsa_workgroup_processor_mode 1
		.amdhsa_memory_ordered 1
		.amdhsa_forward_progress 0
		.amdhsa_shared_vgpr_count 0
		.amdhsa_exception_fp_ieee_invalid_op 0
		.amdhsa_exception_fp_denorm_src 0
		.amdhsa_exception_fp_ieee_div_zero 0
		.amdhsa_exception_fp_ieee_overflow 0
		.amdhsa_exception_fp_ieee_underflow 0
		.amdhsa_exception_fp_ieee_inexact 0
		.amdhsa_exception_int_div_zero 0
	.end_amdhsa_kernel
	.section	.text._ZN4vllm15rms_norm_kernelIfLi16ELi4EEEvPT_PKS1_lllllS4_fii,"axG",@progbits,_ZN4vllm15rms_norm_kernelIfLi16ELi4EEEvPT_PKS1_lllllS4_fii,comdat
.Lfunc_end30:
	.size	_ZN4vllm15rms_norm_kernelIfLi16ELi4EEEvPT_PKS1_lllllS4_fii, .Lfunc_end30-_ZN4vllm15rms_norm_kernelIfLi16ELi4EEEvPT_PKS1_lllllS4_fii
                                        ; -- End function
	.section	.AMDGPU.csdata,"",@progbits
; Kernel info:
; codeLenInByte = 3984
; NumSgprs: 37
; NumVgprs: 37
; ScratchSize: 0
; MemoryBound: 0
; FloatMode: 240
; IeeeMode: 1
; LDSByteSize: 132 bytes/workgroup (compile time only)
; SGPRBlocks: 4
; VGPRBlocks: 4
; NumSGPRsForWavesPerEU: 37
; NumVGPRsForWavesPerEU: 37
; Occupancy: 16
; WaveLimiterHint : 0
; COMPUTE_PGM_RSRC2:SCRATCH_EN: 0
; COMPUTE_PGM_RSRC2:USER_SGPR: 15
; COMPUTE_PGM_RSRC2:TRAP_HANDLER: 0
; COMPUTE_PGM_RSRC2:TGID_X_EN: 1
; COMPUTE_PGM_RSRC2:TGID_Y_EN: 0
; COMPUTE_PGM_RSRC2:TGID_Z_EN: 0
; COMPUTE_PGM_RSRC2:TIDIG_COMP_CNT: 0
	.section	.text._ZN4vllm15rms_norm_kernelIfLi8ELi4EEEvPT_PKS1_lllllS4_fii,"axG",@progbits,_ZN4vllm15rms_norm_kernelIfLi8ELi4EEEvPT_PKS1_lllllS4_fii,comdat
	.protected	_ZN4vllm15rms_norm_kernelIfLi8ELi4EEEvPT_PKS1_lllllS4_fii ; -- Begin function _ZN4vllm15rms_norm_kernelIfLi8ELi4EEEvPT_PKS1_lllllS4_fii
	.globl	_ZN4vllm15rms_norm_kernelIfLi8ELi4EEEvPT_PKS1_lllllS4_fii
	.p2align	8
	.type	_ZN4vllm15rms_norm_kernelIfLi8ELi4EEEvPT_PKS1_lllllS4_fii,@function
_ZN4vllm15rms_norm_kernelIfLi8ELi4EEEvPT_PKS1_lllllS4_fii: ; @_ZN4vllm15rms_norm_kernelIfLi8ELi4EEEvPT_PKS1_lllllS4_fii
; %bb.0:
	s_clause 0x1
	s_load_b256 s[4:11], s[0:1], 0x10
	s_load_b64 s[2:3], s[0:1], 0x30
	s_waitcnt lgkmcnt(0)
	s_mul_i32 s12, s2, s11
	s_mul_hi_u32 s13, s2, s10
	s_mul_i32 s3, s3, s10
	s_add_i32 s13, s13, s12
	s_mov_b32 s12, 0
	s_add_i32 s13, s13, s3
	s_mul_i32 s14, s2, s10
	s_cmp_lg_u64 s[12:13], 0
	s_cbranch_scc0 .LBB31_36
; %bb.1:
	s_ashr_i32 s16, s13, 31
	s_delay_alu instid0(SALU_CYCLE_1) | instskip(SKIP_2) | instid1(SALU_CYCLE_1)
	s_add_u32 s2, s14, s16
	s_mov_b32 s17, s16
	s_addc_u32 s3, s13, s16
	s_xor_b64 s[2:3], s[2:3], s[16:17]
	s_delay_alu instid0(SALU_CYCLE_1) | instskip(SKIP_3) | instid1(VALU_DEP_1)
	v_cvt_f32_u32_e32 v1, s2
	v_cvt_f32_u32_e32 v2, s3
	s_sub_u32 s19, 0, s2
	s_subb_u32 s20, 0, s3
	v_fmamk_f32 v1, v2, 0x4f800000, v1
	s_delay_alu instid0(VALU_DEP_1) | instskip(SKIP_2) | instid1(VALU_DEP_1)
	v_rcp_f32_e32 v1, v1
	s_waitcnt_depctr 0xfff
	v_mul_f32_e32 v1, 0x5f7ffffc, v1
	v_mul_f32_e32 v2, 0x2f800000, v1
	s_delay_alu instid0(VALU_DEP_1) | instskip(NEXT) | instid1(VALU_DEP_1)
	v_trunc_f32_e32 v2, v2
	v_fmamk_f32 v1, v2, 0xcf800000, v1
	v_cvt_u32_f32_e32 v2, v2
	s_delay_alu instid0(VALU_DEP_2) | instskip(NEXT) | instid1(VALU_DEP_2)
	v_cvt_u32_f32_e32 v1, v1
	v_readfirstlane_b32 s13, v2
	s_delay_alu instid0(VALU_DEP_2) | instskip(NEXT) | instid1(VALU_DEP_2)
	v_readfirstlane_b32 s18, v1
	s_mul_i32 s21, s19, s13
	s_delay_alu instid0(VALU_DEP_1)
	s_mul_hi_u32 s23, s19, s18
	s_mul_i32 s22, s20, s18
	s_add_i32 s21, s23, s21
	s_mul_i32 s24, s19, s18
	s_add_i32 s21, s21, s22
	s_mul_hi_u32 s23, s18, s24
	s_mul_hi_u32 s25, s13, s24
	s_mul_i32 s22, s13, s24
	s_mul_hi_u32 s24, s18, s21
	s_mul_i32 s18, s18, s21
	s_mul_hi_u32 s26, s13, s21
	s_add_u32 s18, s23, s18
	s_addc_u32 s23, 0, s24
	s_add_u32 s18, s18, s22
	s_mul_i32 s21, s13, s21
	s_addc_u32 s18, s23, s25
	s_addc_u32 s22, s26, 0
	s_add_u32 s18, s18, s21
	s_addc_u32 s21, 0, s22
	v_add_co_u32 v1, s18, v1, s18
	s_delay_alu instid0(VALU_DEP_1) | instskip(SKIP_1) | instid1(VALU_DEP_1)
	s_cmp_lg_u32 s18, 0
	s_addc_u32 s13, s13, s21
	v_readfirstlane_b32 s18, v1
	s_mul_i32 s21, s19, s13
	s_delay_alu instid0(VALU_DEP_1)
	s_mul_hi_u32 s22, s19, s18
	s_mul_i32 s20, s20, s18
	s_add_i32 s21, s22, s21
	s_mul_i32 s19, s19, s18
	s_add_i32 s21, s21, s20
	s_mul_hi_u32 s22, s13, s19
	s_mul_i32 s23, s13, s19
	s_mul_hi_u32 s19, s18, s19
	s_mul_hi_u32 s24, s18, s21
	s_mul_i32 s18, s18, s21
	s_mul_hi_u32 s20, s13, s21
	s_add_u32 s18, s19, s18
	s_addc_u32 s19, 0, s24
	s_add_u32 s18, s18, s23
	s_mul_i32 s21, s13, s21
	s_addc_u32 s18, s19, s22
	s_addc_u32 s19, s20, 0
	s_add_u32 s18, s18, s21
	s_addc_u32 s19, 0, s19
	v_add_co_u32 v1, s18, v1, s18
	s_delay_alu instid0(VALU_DEP_1) | instskip(SKIP_1) | instid1(VALU_DEP_1)
	s_cmp_lg_u32 s18, 0
	s_addc_u32 s13, s13, s19
	v_readfirstlane_b32 s18, v1
	s_mul_i32 s19, s15, s13
	s_mul_hi_u32 s13, s15, s13
	s_delay_alu instid0(VALU_DEP_1) | instskip(NEXT) | instid1(SALU_CYCLE_1)
	s_mul_hi_u32 s18, s15, s18
	s_add_u32 s18, s18, s19
	s_addc_u32 s13, 0, s13
	s_add_u32 s18, s18, 0
	s_addc_u32 s13, s13, 0
	s_addc_u32 s18, 0, 0
	s_add_u32 s13, s13, 0
	s_addc_u32 s18, 0, s18
	s_mul_hi_u32 s19, s2, s13
	s_mul_i32 s21, s2, s18
	s_mul_i32 s22, s2, s13
	s_add_i32 s19, s19, s21
	v_sub_co_u32 v1, s21, s15, s22
	s_mul_i32 s20, s3, s13
	s_delay_alu instid0(SALU_CYCLE_1) | instskip(NEXT) | instid1(VALU_DEP_1)
	s_add_i32 s19, s19, s20
	v_sub_co_u32 v2, s22, v1, s2
	s_sub_i32 s20, 0, s19
	s_cmp_lg_u32 s21, 0
	s_subb_u32 s20, s20, s3
	s_cmp_lg_u32 s22, 0
	v_readfirstlane_b32 s22, v2
	s_subb_u32 s20, s20, 0
	s_delay_alu instid0(SALU_CYCLE_1) | instskip(SKIP_1) | instid1(VALU_DEP_1)
	s_cmp_ge_u32 s20, s3
	s_cselect_b32 s23, -1, 0
	s_cmp_ge_u32 s22, s2
	s_cselect_b32 s22, -1, 0
	s_cmp_eq_u32 s20, s3
	s_cselect_b32 s20, s22, s23
	s_add_u32 s22, s13, 1
	s_addc_u32 s23, s18, 0
	s_add_u32 s24, s13, 2
	s_addc_u32 s25, s18, 0
	s_cmp_lg_u32 s20, 0
	s_cselect_b32 s20, s24, s22
	s_cselect_b32 s22, s25, s23
	s_cmp_lg_u32 s21, 0
	v_readfirstlane_b32 s21, v1
	s_subb_u32 s19, 0, s19
	s_delay_alu instid0(SALU_CYCLE_1) | instskip(SKIP_1) | instid1(VALU_DEP_1)
	s_cmp_ge_u32 s19, s3
	s_cselect_b32 s23, -1, 0
	s_cmp_ge_u32 s21, s2
	s_cselect_b32 s2, -1, 0
	s_cmp_eq_u32 s19, s3
	s_cselect_b32 s2, s2, s23
	s_delay_alu instid0(SALU_CYCLE_1) | instskip(SKIP_2) | instid1(SALU_CYCLE_1)
	s_cmp_lg_u32 s2, 0
	s_cselect_b32 s3, s22, s18
	s_cselect_b32 s2, s20, s13
	s_xor_b64 s[2:3], s[2:3], s[16:17]
	s_delay_alu instid0(SALU_CYCLE_1)
	s_sub_u32 s2, s2, s16
	s_subb_u32 s3, s3, s16
	s_and_not1_b32 vcc_lo, exec_lo, s12
	s_cbranch_vccnz .LBB31_3
.LBB31_2:
	v_cvt_f32_u32_e32 v1, s14
	s_sub_i32 s3, 0, s14
	s_delay_alu instid0(VALU_DEP_1) | instskip(SKIP_2) | instid1(VALU_DEP_1)
	v_rcp_iflag_f32_e32 v1, v1
	s_waitcnt_depctr 0xfff
	v_mul_f32_e32 v1, 0x4f7ffffe, v1
	v_cvt_u32_f32_e32 v1, v1
	s_delay_alu instid0(VALU_DEP_1) | instskip(NEXT) | instid1(VALU_DEP_1)
	v_readfirstlane_b32 s2, v1
	s_mul_i32 s3, s3, s2
	s_delay_alu instid0(SALU_CYCLE_1) | instskip(NEXT) | instid1(SALU_CYCLE_1)
	s_mul_hi_u32 s3, s2, s3
	s_add_i32 s2, s2, s3
	s_delay_alu instid0(SALU_CYCLE_1) | instskip(NEXT) | instid1(SALU_CYCLE_1)
	s_mul_hi_u32 s2, s15, s2
	s_mul_i32 s3, s2, s14
	s_add_i32 s12, s2, 1
	s_sub_i32 s3, s15, s3
	s_delay_alu instid0(SALU_CYCLE_1)
	s_sub_i32 s13, s3, s14
	s_cmp_ge_u32 s3, s14
	s_cselect_b32 s2, s12, s2
	s_cselect_b32 s3, s13, s3
	s_add_i32 s12, s2, 1
	s_cmp_ge_u32 s3, s14
	s_mov_b32 s3, 0
	s_cselect_b32 s2, s12, s2
.LBB31_3:
	s_load_b64 s[12:13], s[0:1], 0x8
	s_mul_i32 s14, s2, s14
	s_delay_alu instid0(SALU_CYCLE_1) | instskip(NEXT) | instid1(SALU_CYCLE_1)
	s_sub_i32 s16, s15, s14
	s_ashr_i32 s17, s16, 31
	s_delay_alu instid0(SALU_CYCLE_1) | instskip(SKIP_1) | instid1(SALU_CYCLE_1)
	s_or_b64 s[18:19], s[16:17], s[10:11]
	s_mov_b32 s18, 0
	s_cmp_lg_u64 s[18:19], 0
	s_cbranch_scc0 .LBB31_37
; %bb.4:
	s_ashr_i32 s20, s11, 31
	s_delay_alu instid0(SALU_CYCLE_1) | instskip(SKIP_2) | instid1(SALU_CYCLE_1)
	s_add_u32 s22, s10, s20
	s_mov_b32 s21, s20
	s_addc_u32 s23, s11, s20
	s_xor_b64 s[22:23], s[22:23], s[20:21]
	s_delay_alu instid0(SALU_CYCLE_1) | instskip(SKIP_3) | instid1(VALU_DEP_1)
	v_cvt_f32_u32_e32 v1, s22
	v_cvt_f32_u32_e32 v2, s23
	s_sub_u32 s25, 0, s22
	s_subb_u32 s26, 0, s23
	v_fmamk_f32 v1, v2, 0x4f800000, v1
	s_delay_alu instid0(VALU_DEP_1) | instskip(SKIP_2) | instid1(VALU_DEP_1)
	v_rcp_f32_e32 v1, v1
	s_waitcnt_depctr 0xfff
	v_mul_f32_e32 v1, 0x5f7ffffc, v1
	v_mul_f32_e32 v2, 0x2f800000, v1
	s_delay_alu instid0(VALU_DEP_1) | instskip(NEXT) | instid1(VALU_DEP_1)
	v_trunc_f32_e32 v2, v2
	v_fmamk_f32 v1, v2, 0xcf800000, v1
	v_cvt_u32_f32_e32 v2, v2
	s_delay_alu instid0(VALU_DEP_2) | instskip(NEXT) | instid1(VALU_DEP_2)
	v_cvt_u32_f32_e32 v1, v1
	v_readfirstlane_b32 s14, v2
	s_delay_alu instid0(VALU_DEP_2) | instskip(NEXT) | instid1(VALU_DEP_2)
	v_readfirstlane_b32 s19, v1
	s_mul_i32 s24, s25, s14
	s_delay_alu instid0(VALU_DEP_1)
	s_mul_hi_u32 s28, s25, s19
	s_mul_i32 s27, s26, s19
	s_add_i32 s24, s28, s24
	s_mul_i32 s29, s25, s19
	s_add_i32 s24, s24, s27
	s_mul_hi_u32 s28, s19, s29
	s_mul_hi_u32 s30, s14, s29
	s_mul_i32 s27, s14, s29
	s_mul_hi_u32 s29, s19, s24
	s_mul_i32 s19, s19, s24
	s_mul_hi_u32 s31, s14, s24
	s_add_u32 s19, s28, s19
	s_addc_u32 s28, 0, s29
	s_add_u32 s19, s19, s27
	s_mul_i32 s24, s14, s24
	s_addc_u32 s19, s28, s30
	s_addc_u32 s27, s31, 0
	s_add_u32 s19, s19, s24
	s_addc_u32 s24, 0, s27
	v_add_co_u32 v1, s19, v1, s19
	s_delay_alu instid0(VALU_DEP_1) | instskip(SKIP_1) | instid1(VALU_DEP_1)
	s_cmp_lg_u32 s19, 0
	s_addc_u32 s14, s14, s24
	v_readfirstlane_b32 s19, v1
	s_mul_i32 s27, s25, s14
	s_mov_b32 s24, s17
	s_delay_alu instid0(VALU_DEP_1)
	s_mul_hi_u32 s28, s25, s19
	s_mul_i32 s26, s26, s19
	s_add_i32 s27, s28, s27
	s_mul_i32 s25, s25, s19
	s_add_i32 s27, s27, s26
	s_mul_hi_u32 s28, s14, s25
	s_mul_i32 s29, s14, s25
	s_mul_hi_u32 s25, s19, s25
	s_mul_hi_u32 s30, s19, s27
	s_mul_i32 s19, s19, s27
	s_mul_hi_u32 s26, s14, s27
	s_add_u32 s19, s25, s19
	s_addc_u32 s25, 0, s30
	s_add_u32 s19, s19, s29
	s_mul_i32 s27, s14, s27
	s_addc_u32 s19, s25, s28
	s_addc_u32 s25, s26, 0
	s_add_u32 s19, s19, s27
	s_addc_u32 s26, 0, s25
	v_add_co_u32 v1, s19, v1, s19
	s_delay_alu instid0(VALU_DEP_1)
	s_cmp_lg_u32 s19, 0
	s_mov_b32 s25, s17
	s_addc_u32 s14, s14, s26
	s_add_u32 s26, s16, s17
	v_readfirstlane_b32 s19, v1
	s_addc_u32 s27, s17, s17
	s_delay_alu instid0(SALU_CYCLE_1) | instskip(NEXT) | instid1(SALU_CYCLE_1)
	s_xor_b64 s[26:27], s[26:27], s[24:25]
	s_mul_i32 s29, s26, s14
	s_delay_alu instid0(VALU_DEP_1)
	s_mul_hi_u32 s30, s26, s19
	s_mul_hi_u32 s28, s26, s14
	;; [unrolled: 1-line block ×3, first 2 shown]
	s_mul_i32 s19, s27, s19
	s_add_u32 s29, s30, s29
	s_addc_u32 s28, 0, s28
	s_mul_hi_u32 s31, s27, s14
	s_add_u32 s19, s29, s19
	s_mul_i32 s14, s27, s14
	s_addc_u32 s19, s28, s33
	s_addc_u32 s28, s31, 0
	s_add_u32 s14, s19, s14
	s_addc_u32 s19, 0, s28
	s_mul_i32 s31, s22, s14
	s_mul_hi_u32 s28, s22, s14
	s_mul_i32 s30, s22, s19
	v_sub_co_u32 v1, s26, s26, s31
	s_mul_i32 s29, s23, s14
	s_add_i32 s28, s28, s30
	s_delay_alu instid0(SALU_CYCLE_1) | instskip(NEXT) | instid1(VALU_DEP_1)
	s_add_i32 s28, s28, s29
	v_sub_co_u32 v2, s30, v1, s22
	s_sub_i32 s29, s27, s28
	s_cmp_lg_u32 s26, 0
	s_subb_u32 s29, s29, s23
	s_cmp_lg_u32 s30, 0
	v_readfirstlane_b32 s30, v2
	s_subb_u32 s29, s29, 0
	s_delay_alu instid0(SALU_CYCLE_1) | instskip(SKIP_1) | instid1(VALU_DEP_1)
	s_cmp_ge_u32 s29, s23
	s_cselect_b32 s31, -1, 0
	s_cmp_ge_u32 s30, s22
	s_cselect_b32 s30, -1, 0
	s_cmp_eq_u32 s29, s23
	s_cselect_b32 s29, s30, s31
	s_add_u32 s30, s14, 1
	s_addc_u32 s31, s19, 0
	s_add_u32 s33, s14, 2
	s_addc_u32 s34, s19, 0
	s_cmp_lg_u32 s29, 0
	s_cselect_b32 s29, s33, s30
	s_cselect_b32 s30, s34, s31
	s_cmp_lg_u32 s26, 0
	v_readfirstlane_b32 s26, v1
	s_subb_u32 s27, s27, s28
	s_delay_alu instid0(SALU_CYCLE_1) | instskip(SKIP_1) | instid1(VALU_DEP_1)
	s_cmp_ge_u32 s27, s23
	s_cselect_b32 s28, -1, 0
	s_cmp_ge_u32 s26, s22
	s_cselect_b32 s22, -1, 0
	s_cmp_eq_u32 s27, s23
	s_cselect_b32 s22, s22, s28
	s_delay_alu instid0(SALU_CYCLE_1) | instskip(SKIP_3) | instid1(SALU_CYCLE_1)
	s_cmp_lg_u32 s22, 0
	s_cselect_b32 s23, s30, s19
	s_cselect_b32 s22, s29, s14
	s_xor_b64 s[20:21], s[24:25], s[20:21]
	s_xor_b64 s[22:23], s[22:23], s[20:21]
	s_delay_alu instid0(SALU_CYCLE_1)
	s_sub_u32 s20, s22, s20
	s_subb_u32 s21, s23, s21
	s_and_not1_b32 vcc_lo, exec_lo, s18
	s_cbranch_vccnz .LBB31_6
.LBB31_5:
	v_cvt_f32_u32_e32 v1, s10
	s_sub_i32 s18, 0, s10
	s_mov_b32 s21, 0
	s_delay_alu instid0(VALU_DEP_1) | instskip(SKIP_2) | instid1(VALU_DEP_1)
	v_rcp_iflag_f32_e32 v1, v1
	s_waitcnt_depctr 0xfff
	v_mul_f32_e32 v1, 0x4f7ffffe, v1
	v_cvt_u32_f32_e32 v1, v1
	s_delay_alu instid0(VALU_DEP_1) | instskip(NEXT) | instid1(VALU_DEP_1)
	v_readfirstlane_b32 s14, v1
	s_mul_i32 s18, s18, s14
	s_delay_alu instid0(SALU_CYCLE_1) | instskip(NEXT) | instid1(SALU_CYCLE_1)
	s_mul_hi_u32 s18, s14, s18
	s_add_i32 s14, s14, s18
	s_delay_alu instid0(SALU_CYCLE_1) | instskip(NEXT) | instid1(SALU_CYCLE_1)
	s_mul_hi_u32 s14, s16, s14
	s_mul_i32 s18, s14, s10
	s_add_i32 s19, s14, 1
	s_sub_i32 s18, s16, s18
	s_delay_alu instid0(SALU_CYCLE_1)
	s_sub_i32 s20, s18, s10
	s_cmp_ge_u32 s18, s10
	s_cselect_b32 s14, s19, s14
	s_cselect_b32 s18, s20, s18
	s_add_i32 s19, s14, 1
	s_cmp_ge_u32 s18, s10
	s_cselect_b32 s20, s19, s14
.LBB31_6:
	s_delay_alu instid0(SALU_CYCLE_1)
	s_mul_i32 s11, s20, s11
	s_mul_hi_u32 s14, s20, s10
	s_mul_i32 s9, s2, s9
	s_add_i32 s11, s14, s11
	s_mul_i32 s14, s21, s10
	s_mul_i32 s10, s20, s10
	s_add_i32 s11, s11, s14
	s_sub_u32 s14, s16, s10
	s_subb_u32 s16, s17, s11
	s_mul_hi_u32 s17, s2, s8
	s_bfe_i64 s[10:11], s[2:3], 0x200000
	s_add_i32 s3, s17, s9
	s_mul_i32 s9, s11, s8
	s_mul_i32 s2, s2, s8
	s_add_i32 s3, s3, s9
	s_mul_i32 s7, s20, s7
	s_lshl_b64 s[8:9], s[2:3], 2
	s_mul_hi_u32 s17, s20, s6
	s_waitcnt lgkmcnt(0)
	s_add_u32 s10, s12, s8
	s_addc_u32 s11, s13, s9
	s_bfe_i64 s[2:3], s[20:21], 0x200000
	s_add_i32 s2, s17, s7
	s_mul_i32 s3, s3, s6
	s_load_b32 s17, s[0:1], 0x5c
	s_add_i32 s3, s2, s3
	s_mul_i32 s2, s20, s6
	s_mul_i32 s5, s14, s5
	s_lshl_b64 s[6:7], s[2:3], 2
	s_load_b32 s3, s[0:1], 0x48
	s_add_u32 s2, s10, s6
	s_mul_hi_u32 s10, s14, s4
	s_addc_u32 s11, s11, s7
	s_add_i32 s5, s10, s5
	s_mul_i32 s16, s16, s4
	s_mul_i32 s4, s14, s4
	s_add_i32 s5, s5, s16
	s_delay_alu instid0(SALU_CYCLE_1) | instskip(NEXT) | instid1(SALU_CYCLE_1)
	s_lshl_b64 s[4:5], s[4:5], 2
	s_add_u32 s14, s2, s4
	s_addc_u32 s16, s11, s5
	s_and_b32 s10, s14, 31
	s_mov_b32 s11, 0
	s_waitcnt lgkmcnt(0)
	s_and_b32 s17, s17, 0xffff
	s_cmp_lg_u64 s[10:11], 0
	s_cselect_b32 s2, -1, 0
	s_and_b32 s10, s3, 7
	s_delay_alu instid0(SALU_CYCLE_1) | instskip(SKIP_1) | instid1(SALU_CYCLE_1)
	s_cmp_lg_u32 s10, 0
	s_cselect_b32 s10, -1, 0
	s_or_b32 s2, s10, s2
	s_delay_alu instid0(SALU_CYCLE_1)
	s_and_b32 vcc_lo, exec_lo, s2
	s_cbranch_vccz .LBB31_20
; %bb.7:
	s_sub_i32 s2, 0, s14
	v_mov_b32_e32 v4, 0
	s_bfe_u32 s2, s2, 0x30002
	s_mov_b32 s11, exec_lo
	s_min_i32 s10, s2, s3
	s_delay_alu instid0(SALU_CYCLE_1)
	v_cmpx_gt_i32_e64 s10, v0
	s_cbranch_execz .LBB31_11
; %bb.8:
	s_add_u32 s2, s4, s8
	s_addc_u32 s18, s5, s9
	v_dual_mov_b32 v4, 0 :: v_dual_lshlrev_b32 v1, 2, v0
	s_add_u32 s2, s2, s6
	s_addc_u32 s18, s18, s7
	s_add_u32 s2, s12, s2
	s_addc_u32 s18, s13, s18
	v_add_co_u32 v1, s2, s2, v1
	s_delay_alu instid0(VALU_DEP_1)
	v_add_co_ci_u32_e64 v2, null, s18, 0, s2
	v_mov_b32_e32 v3, v0
	s_mov_b32 s18, 0
	s_lshl_b32 s19, s17, 2
.LBB31_9:                               ; =>This Inner Loop Header: Depth=1
	global_load_b32 v5, v[1:2], off
	v_add_nc_u32_e32 v3, s17, v3
	v_add_co_u32 v1, vcc_lo, v1, s19
	v_add_co_ci_u32_e32 v2, vcc_lo, 0, v2, vcc_lo
	s_waitcnt vmcnt(0)
	v_fmac_f32_e32 v4, v5, v5
	v_cmp_le_i32_e64 s2, s10, v3
	s_delay_alu instid0(VALU_DEP_1) | instskip(NEXT) | instid1(SALU_CYCLE_1)
	s_or_b32 s18, s2, s18
	s_and_not1_b32 exec_lo, exec_lo, s18
	s_cbranch_execnz .LBB31_9
; %bb.10:
	s_or_b32 exec_lo, exec_lo, s18
.LBB31_11:
	s_delay_alu instid0(SALU_CYCLE_1)
	s_or_b32 exec_lo, exec_lo, s11
	s_sub_i32 s18, s3, s10
	s_ashr_i32 s11, s10, 31
	s_ashr_i32 s2, s18, 31
	s_mov_b32 s20, exec_lo
	s_lshr_b32 s2, s2, 29
	s_delay_alu instid0(SALU_CYCLE_1) | instskip(NEXT) | instid1(SALU_CYCLE_1)
	s_add_i32 s2, s18, s2
	s_ashr_i32 s19, s2, 3
	s_delay_alu instid0(SALU_CYCLE_1)
	v_cmpx_gt_i32_e64 s19, v0
	s_cbranch_execz .LBB31_15
; %bb.12:
	s_add_u32 s2, s4, s8
	s_addc_u32 s21, s5, s9
	s_add_u32 s2, s2, s6
	s_addc_u32 s21, s21, s7
	s_lshl_b64 s[22:23], s[10:11], 2
	v_lshlrev_b32_e32 v1, 5, v0
	s_add_u32 s22, s12, s22
	s_addc_u32 s23, s13, s23
	s_add_u32 s2, s22, s2
	s_addc_u32 s21, s23, s21
	v_add_co_u32 v1, s2, s2, v1
	s_delay_alu instid0(VALU_DEP_1)
	v_add_co_ci_u32_e64 v2, null, s21, 0, s2
	v_mov_b32_e32 v3, v0
	s_mov_b32 s21, 0
	s_lshl_b32 s22, s17, 5
	.p2align	6
.LBB31_13:                              ; =>This Inner Loop Header: Depth=1
	s_clause 0x1
	global_load_b128 v[5:8], v[1:2], off
	global_load_b128 v[9:12], v[1:2], off offset:16
	v_add_co_u32 v1, vcc_lo, v1, s22
	v_add_co_ci_u32_e32 v2, vcc_lo, 0, v2, vcc_lo
	v_add_nc_u32_e32 v3, s17, v3
	s_delay_alu instid0(VALU_DEP_1) | instskip(NEXT) | instid1(VALU_DEP_1)
	v_cmp_le_i32_e64 s2, s19, v3
	s_or_b32 s21, s2, s21
	s_waitcnt vmcnt(1)
	v_fmac_f32_e32 v4, v5, v5
	s_delay_alu instid0(VALU_DEP_1) | instskip(NEXT) | instid1(VALU_DEP_1)
	v_fmac_f32_e32 v4, v6, v6
	v_fmac_f32_e32 v4, v7, v7
	s_delay_alu instid0(VALU_DEP_1) | instskip(SKIP_1) | instid1(VALU_DEP_1)
	v_fmac_f32_e32 v4, v8, v8
	s_waitcnt vmcnt(0)
	v_fmac_f32_e32 v4, v9, v9
	s_delay_alu instid0(VALU_DEP_1) | instskip(NEXT) | instid1(VALU_DEP_1)
	v_fmac_f32_e32 v4, v10, v10
	v_fmac_f32_e32 v4, v11, v11
	s_delay_alu instid0(VALU_DEP_1)
	v_fmac_f32_e32 v4, v12, v12
	s_and_not1_b32 exec_lo, exec_lo, s21
	s_cbranch_execnz .LBB31_13
; %bb.14:
	s_or_b32 exec_lo, exec_lo, s21
.LBB31_15:
	s_delay_alu instid0(SALU_CYCLE_1) | instskip(SKIP_2) | instid1(VALU_DEP_1)
	s_or_b32 exec_lo, exec_lo, s20
	v_lshl_add_u32 v1, s19, 3, v0
	s_mov_b32 s19, exec_lo
	v_cmpx_gt_i32_e64 s18, v1
	s_cbranch_execz .LBB31_19
; %bb.16:
	v_ashrrev_i32_e32 v2, 31, v1
	s_add_u32 s2, s4, s8
	s_addc_u32 s20, s5, s9
	s_add_u32 s2, s2, s6
	s_addc_u32 s20, s20, s7
	s_lshl_b64 s[10:11], s[10:11], 2
	v_lshlrev_b64 v[2:3], 2, v[1:2]
	s_add_u32 s2, s2, s10
	s_addc_u32 s10, s20, s11
	s_add_u32 s2, s12, s2
	s_addc_u32 s10, s13, s10
	s_lshl_b32 s11, s17, 2
	v_add_co_u32 v2, vcc_lo, s2, v2
	v_add_co_ci_u32_e32 v3, vcc_lo, s10, v3, vcc_lo
	s_mov_b32 s10, 0
.LBB31_17:                              ; =>This Inner Loop Header: Depth=1
	global_load_b32 v5, v[2:3], off
	v_add_nc_u32_e32 v1, s17, v1
	v_add_co_u32 v2, vcc_lo, v2, s11
	v_add_co_ci_u32_e32 v3, vcc_lo, 0, v3, vcc_lo
	s_delay_alu instid0(VALU_DEP_3) | instskip(NEXT) | instid1(VALU_DEP_1)
	v_cmp_le_i32_e64 s2, s18, v1
	s_or_b32 s10, s2, s10
	s_waitcnt vmcnt(0)
	v_fmac_f32_e32 v4, v5, v5
	s_and_not1_b32 exec_lo, exec_lo, s10
	s_cbranch_execnz .LBB31_17
; %bb.18:
	s_or_b32 exec_lo, exec_lo, s10
.LBB31_19:
	s_delay_alu instid0(SALU_CYCLE_1)
	s_or_b32 exec_lo, exec_lo, s19
	s_branch .LBB31_26
.LBB31_20:
                                        ; implicit-def: $vgpr4
	s_cbranch_execz .LBB31_26
; %bb.21:
	v_mov_b32_e32 v4, 0
	s_ashr_i32 s11, s3, 3
	s_mov_b32 s10, exec_lo
	v_cmpx_gt_i32_e64 s11, v0
	s_cbranch_execz .LBB31_25
; %bb.22:
	s_add_u32 s2, s4, s8
	s_addc_u32 s4, s5, s9
	v_dual_mov_b32 v4, 0 :: v_dual_lshlrev_b32 v1, 5, v0
	s_add_u32 s2, s2, s6
	s_addc_u32 s4, s4, s7
	s_add_u32 s2, s12, s2
	s_addc_u32 s4, s13, s4
	v_add_co_u32 v1, s2, s2, v1
	s_delay_alu instid0(VALU_DEP_1)
	v_add_co_ci_u32_e64 v2, null, s4, 0, s2
	v_mov_b32_e32 v3, v0
	s_mov_b32 s4, 0
	s_lshl_b32 s5, s17, 5
	.p2align	6
.LBB31_23:                              ; =>This Inner Loop Header: Depth=1
	s_clause 0x1
	global_load_b128 v[5:8], v[1:2], off
	global_load_b128 v[9:12], v[1:2], off offset:16
	v_add_co_u32 v1, vcc_lo, v1, s5
	v_add_co_ci_u32_e32 v2, vcc_lo, 0, v2, vcc_lo
	v_add_nc_u32_e32 v3, s17, v3
	s_delay_alu instid0(VALU_DEP_1) | instskip(NEXT) | instid1(VALU_DEP_1)
	v_cmp_le_i32_e64 s2, s11, v3
	s_or_b32 s4, s2, s4
	s_waitcnt vmcnt(1)
	v_fmac_f32_e32 v4, v5, v5
	s_delay_alu instid0(VALU_DEP_1) | instskip(NEXT) | instid1(VALU_DEP_1)
	v_fmac_f32_e32 v4, v6, v6
	v_fmac_f32_e32 v4, v7, v7
	s_delay_alu instid0(VALU_DEP_1) | instskip(SKIP_1) | instid1(VALU_DEP_1)
	v_fmac_f32_e32 v4, v8, v8
	s_waitcnt vmcnt(0)
	v_fmac_f32_e32 v4, v9, v9
	s_delay_alu instid0(VALU_DEP_1) | instskip(NEXT) | instid1(VALU_DEP_1)
	v_fmac_f32_e32 v4, v10, v10
	v_fmac_f32_e32 v4, v11, v11
	s_delay_alu instid0(VALU_DEP_1)
	v_fmac_f32_e32 v4, v12, v12
	s_and_not1_b32 exec_lo, exec_lo, s4
	s_cbranch_execnz .LBB31_23
; %bb.24:
	s_or_b32 exec_lo, exec_lo, s4
.LBB31_25:
	s_delay_alu instid0(SALU_CYCLE_1)
	s_or_b32 exec_lo, exec_lo, s10
.LBB31_26:
	v_mbcnt_lo_u32_b32 v1, -1, 0
	v_and_b32_e32 v3, 0x3e0, v0
	s_mov_b32 s2, exec_lo
	s_delay_alu instid0(VALU_DEP_2) | instskip(NEXT) | instid1(VALU_DEP_2)
	v_cmp_ne_u32_e32 vcc_lo, 31, v1
	v_sub_nc_u32_e64 v12, s17, v3 clamp
	v_add_nc_u32_e32 v3, 1, v1
	v_add_co_ci_u32_e32 v2, vcc_lo, 0, v1, vcc_lo
	v_cmp_gt_u32_e32 vcc_lo, 30, v1
	s_delay_alu instid0(VALU_DEP_2)
	v_lshlrev_b32_e32 v2, 2, v2
	v_cndmask_b32_e64 v6, 0, 1, vcc_lo
	v_cmp_lt_u32_e32 vcc_lo, v3, v12
	ds_bpermute_b32 v5, v2, v4
	s_waitcnt lgkmcnt(0)
	v_dual_add_f32 v7, v4, v5 :: v_dual_lshlrev_b32 v6, 1, v6
	s_delay_alu instid0(VALU_DEP_1) | instskip(NEXT) | instid1(VALU_DEP_2)
	v_cndmask_b32_e32 v7, v4, v7, vcc_lo
	v_add_lshl_u32 v5, v6, v1, 2
	v_cmp_gt_u32_e32 vcc_lo, 28, v1
	ds_bpermute_b32 v6, v5, v7
	v_cndmask_b32_e64 v4, 0, 1, vcc_lo
	s_delay_alu instid0(VALU_DEP_1) | instskip(SKIP_1) | instid1(VALU_DEP_1)
	v_lshlrev_b32_e32 v8, 2, v4
	v_add_nc_u32_e32 v4, 2, v1
	v_cmp_lt_u32_e32 vcc_lo, v4, v12
	s_waitcnt lgkmcnt(0)
	v_add_f32_e32 v9, v7, v6
	v_add_lshl_u32 v6, v8, v1, 2
	s_delay_alu instid0(VALU_DEP_2) | instskip(SKIP_2) | instid1(VALU_DEP_1)
	v_cndmask_b32_e32 v9, v7, v9, vcc_lo
	v_cmp_gt_u32_e32 vcc_lo, 24, v1
	v_cndmask_b32_e64 v7, 0, 1, vcc_lo
	v_lshlrev_b32_e32 v10, 3, v7
	ds_bpermute_b32 v8, v6, v9
	v_add_nc_u32_e32 v7, 4, v1
	s_delay_alu instid0(VALU_DEP_1) | instskip(SKIP_3) | instid1(VALU_DEP_2)
	v_cmp_lt_u32_e32 vcc_lo, v7, v12
	s_waitcnt lgkmcnt(0)
	v_add_f32_e32 v11, v9, v8
	v_add_lshl_u32 v8, v10, v1, 2
	v_cndmask_b32_e32 v11, v9, v11, vcc_lo
	v_cmp_gt_u32_e32 vcc_lo, 16, v1
	ds_bpermute_b32 v10, v8, v11
	v_cndmask_b32_e64 v9, 0, 1, vcc_lo
	s_delay_alu instid0(VALU_DEP_1) | instskip(SKIP_1) | instid1(VALU_DEP_1)
	v_lshlrev_b32_e32 v13, 4, v9
	v_add_nc_u32_e32 v9, 8, v1
	v_cmp_lt_u32_e32 vcc_lo, v9, v12
	s_waitcnt lgkmcnt(0)
	v_add_f32_e32 v14, v11, v10
	v_add_lshl_u32 v10, v13, v1, 2
	s_delay_alu instid0(VALU_DEP_2)
	v_cndmask_b32_e32 v13, v11, v14, vcc_lo
	v_add_nc_u32_e32 v11, 16, v1
	ds_bpermute_b32 v14, v10, v13
	v_cmp_lt_u32_e32 vcc_lo, v11, v12
	s_waitcnt lgkmcnt(0)
	v_add_f32_e32 v14, v13, v14
	s_delay_alu instid0(VALU_DEP_1)
	v_cndmask_b32_e32 v12, v13, v14, vcc_lo
	v_cmpx_eq_u32_e32 0, v1
	s_cbranch_execz .LBB31_28
; %bb.27:
	v_lshrrev_b32_e32 v13, 3, v0
	s_delay_alu instid0(VALU_DEP_1)
	v_and_b32_e32 v13, 0x7c, v13
	ds_store_b32 v13, v12
.LBB31_28:
	s_or_b32 exec_lo, exec_lo, s2
	s_delay_alu instid0(SALU_CYCLE_1)
	s_mov_b32 s2, exec_lo
	s_waitcnt lgkmcnt(0)
	s_barrier
	buffer_gl0_inv
	v_cmpx_gt_u32_e32 32, v0
	s_cbranch_execz .LBB31_30
; %bb.29:
	v_lshlrev_b32_e32 v1, 2, v1
	s_add_i32 s4, s17, 31
	s_delay_alu instid0(SALU_CYCLE_1) | instskip(NEXT) | instid1(SALU_CYCLE_1)
	s_lshr_b32 s4, s4, 5
	v_cmp_gt_u32_e32 vcc_lo, s4, v3
	ds_load_b32 v1, v1
	s_waitcnt lgkmcnt(0)
	ds_bpermute_b32 v2, v2, v1
	s_waitcnt lgkmcnt(0)
	v_add_f32_e32 v2, v1, v2
	s_delay_alu instid0(VALU_DEP_1) | instskip(SKIP_4) | instid1(VALU_DEP_1)
	v_cndmask_b32_e32 v1, v1, v2, vcc_lo
	v_cmp_gt_u32_e32 vcc_lo, s4, v4
	ds_bpermute_b32 v2, v5, v1
	s_waitcnt lgkmcnt(0)
	v_add_f32_e32 v2, v1, v2
	v_cndmask_b32_e32 v1, v1, v2, vcc_lo
	v_cmp_gt_u32_e32 vcc_lo, s4, v7
	ds_bpermute_b32 v2, v6, v1
	s_waitcnt lgkmcnt(0)
	v_add_f32_e32 v2, v1, v2
	s_delay_alu instid0(VALU_DEP_1) | instskip(SKIP_4) | instid1(VALU_DEP_1)
	v_cndmask_b32_e32 v1, v1, v2, vcc_lo
	v_cmp_gt_u32_e32 vcc_lo, s4, v9
	ds_bpermute_b32 v2, v8, v1
	s_waitcnt lgkmcnt(0)
	v_add_f32_e32 v2, v1, v2
	v_cndmask_b32_e32 v1, v1, v2, vcc_lo
	v_cmp_gt_u32_e32 vcc_lo, s4, v11
	ds_bpermute_b32 v2, v10, v1
	s_waitcnt lgkmcnt(0)
	v_add_f32_e32 v2, v1, v2
	s_delay_alu instid0(VALU_DEP_1)
	v_cndmask_b32_e32 v12, v1, v2, vcc_lo
.LBB31_30:
	s_or_b32 exec_lo, exec_lo, s2
	s_delay_alu instid0(SALU_CYCLE_1)
	s_mov_b32 s2, exec_lo
	v_cmpx_eq_u32_e32 0, v0
	s_cbranch_execz .LBB31_32
; %bb.31:
	v_cvt_f32_i32_e32 v1, s3
	s_load_b32 s4, s[0:1], 0x40
	s_delay_alu instid0(VALU_DEP_1) | instskip(SKIP_1) | instid1(VALU_DEP_2)
	v_div_scale_f32 v2, null, v1, v1, v12
	v_div_scale_f32 v5, vcc_lo, v12, v1, v12
	v_rcp_f32_e32 v3, v2
	s_waitcnt_depctr 0xfff
	v_fma_f32 v4, -v2, v3, 1.0
	s_delay_alu instid0(VALU_DEP_1) | instskip(NEXT) | instid1(VALU_DEP_1)
	v_fmac_f32_e32 v3, v4, v3
	v_mul_f32_e32 v4, v5, v3
	s_delay_alu instid0(VALU_DEP_1) | instskip(NEXT) | instid1(VALU_DEP_1)
	v_fma_f32 v6, -v2, v4, v5
	v_fmac_f32_e32 v4, v6, v3
	s_delay_alu instid0(VALU_DEP_1) | instskip(NEXT) | instid1(VALU_DEP_1)
	v_fma_f32 v2, -v2, v4, v5
	v_div_fmas_f32 v2, v2, v3, v4
	s_delay_alu instid0(VALU_DEP_1) | instskip(SKIP_1) | instid1(VALU_DEP_1)
	v_div_fixup_f32 v1, v2, v1, v12
	s_waitcnt lgkmcnt(0)
	v_add_f32_e32 v1, s4, v1
	s_delay_alu instid0(VALU_DEP_1) | instskip(SKIP_1) | instid1(VALU_DEP_2)
	v_mul_f32_e32 v2, 0x4b800000, v1
	v_cmp_gt_f32_e32 vcc_lo, 0x800000, v1
	v_cndmask_b32_e32 v1, v1, v2, vcc_lo
	s_delay_alu instid0(VALU_DEP_1) | instskip(SKIP_2) | instid1(VALU_DEP_1)
	v_rsq_f32_e32 v1, v1
	s_waitcnt_depctr 0xfff
	v_mul_f32_e32 v2, 0x45800000, v1
	v_dual_cndmask_b32 v1, v1, v2 :: v_dual_mov_b32 v2, 0
	ds_store_b32 v2, v1 offset:128
.LBB31_32:
	s_or_b32 exec_lo, exec_lo, s2
	s_ashr_i32 s2, s3, 31
	s_waitcnt lgkmcnt(0)
	s_lshr_b32 s2, s2, 29
	s_barrier
	s_add_i32 s2, s3, s2
	buffer_gl0_inv
	s_ashr_i32 s4, s2, 3
	s_mov_b32 s2, exec_lo
	v_cmpx_gt_i32_e64 s4, v0
	s_cbranch_execz .LBB31_35
; %bb.33:
	v_dual_mov_b32 v1, 0 :: v_dual_lshlrev_b32 v2, 5, v0
	s_clause 0x1
	s_load_b64 s[6:7], s[0:1], 0x0
	s_load_b64 s[0:1], s[0:1], 0x38
	s_mul_i32 s2, s15, s3
	s_mov_b32 s3, 0
	ds_load_b32 v1, v1 offset:128
	s_lshl_b64 s[8:9], s[2:3], 2
	s_waitcnt lgkmcnt(0)
	s_add_u32 s2, s6, s8
	s_addc_u32 s5, s7, s9
	s_lshl_b32 s6, s17, 5
.LBB31_34:                              ; =>This Inner Loop Header: Depth=1
	v_add_co_u32 v7, s7, s14, v2
	s_delay_alu instid0(VALU_DEP_1) | instskip(SKIP_1) | instid1(VALU_DEP_1)
	v_add_co_ci_u32_e64 v8, null, s16, 0, s7
	v_add_co_u32 v15, s7, s0, v2
	v_add_co_ci_u32_e64 v16, null, s1, 0, s7
	s_clause 0x1
	global_load_b128 v[3:6], v[7:8], off
	global_load_b128 v[7:10], v[7:8], off offset:16
	s_clause 0x1
	global_load_b128 v[11:14], v[15:16], off
	global_load_b128 v[15:18], v[15:16], off offset:16
	v_add_nc_u32_e32 v0, s17, v0
	v_add_co_u32 v19, s7, s2, v2
	s_add_u32 s2, s2, s6
	v_add_co_ci_u32_e64 v20, null, s5, 0, s7
	s_addc_u32 s5, s5, 0
	s_add_u32 s14, s14, s6
	s_addc_u32 s16, s16, 0
	s_add_u32 s0, s0, s6
	s_addc_u32 s1, s1, 0
	s_waitcnt vmcnt(3)
	v_mul_f32_e32 v3, v3, v1
	v_mul_f32_e32 v4, v4, v1
	s_waitcnt vmcnt(2)
	v_mul_f32_e32 v7, v7, v1
	v_mul_f32_e32 v6, v6, v1
	s_waitcnt vmcnt(1)
	v_dual_mul_f32 v8, v8, v1 :: v_dual_mul_f32 v3, v3, v11
	v_dual_mul_f32 v5, v5, v1 :: v_dual_mul_f32 v4, v4, v12
	s_waitcnt vmcnt(0)
	s_delay_alu instid0(VALU_DEP_2) | instskip(SKIP_4) | instid1(VALU_DEP_4)
	v_dual_mul_f32 v9, v9, v1 :: v_dual_mul_f32 v8, v8, v16
	v_mul_f32_e32 v10, v10, v1
	v_cmp_le_i32_e32 vcc_lo, s4, v0
	v_mul_f32_e32 v5, v5, v13
	v_dual_mul_f32 v7, v7, v15 :: v_dual_mul_f32 v6, v6, v14
	v_dual_mul_f32 v10, v10, v18 :: v_dual_mul_f32 v9, v9, v17
	s_or_b32 s3, vcc_lo, s3
	s_clause 0x1
	global_store_b128 v[19:20], v[3:6], off
	global_store_b128 v[19:20], v[7:10], off offset:16
	s_and_not1_b32 exec_lo, exec_lo, s3
	s_cbranch_execnz .LBB31_34
.LBB31_35:
	s_nop 0
	s_sendmsg sendmsg(MSG_DEALLOC_VGPRS)
	s_endpgm
.LBB31_36:
                                        ; implicit-def: $sgpr2_sgpr3
	s_branch .LBB31_2
.LBB31_37:
                                        ; implicit-def: $sgpr20_sgpr21
	s_branch .LBB31_5
	.section	.rodata,"a",@progbits
	.p2align	6, 0x0
	.amdhsa_kernel _ZN4vllm15rms_norm_kernelIfLi8ELi4EEEvPT_PKS1_lllllS4_fii
		.amdhsa_group_segment_fixed_size 132
		.amdhsa_private_segment_fixed_size 0
		.amdhsa_kernarg_size 336
		.amdhsa_user_sgpr_count 15
		.amdhsa_user_sgpr_dispatch_ptr 0
		.amdhsa_user_sgpr_queue_ptr 0
		.amdhsa_user_sgpr_kernarg_segment_ptr 1
		.amdhsa_user_sgpr_dispatch_id 0
		.amdhsa_user_sgpr_private_segment_size 0
		.amdhsa_wavefront_size32 1
		.amdhsa_uses_dynamic_stack 0
		.amdhsa_enable_private_segment 0
		.amdhsa_system_sgpr_workgroup_id_x 1
		.amdhsa_system_sgpr_workgroup_id_y 0
		.amdhsa_system_sgpr_workgroup_id_z 0
		.amdhsa_system_sgpr_workgroup_info 0
		.amdhsa_system_vgpr_workitem_id 0
		.amdhsa_next_free_vgpr 21
		.amdhsa_next_free_sgpr 35
		.amdhsa_reserve_vcc 1
		.amdhsa_float_round_mode_32 0
		.amdhsa_float_round_mode_16_64 0
		.amdhsa_float_denorm_mode_32 3
		.amdhsa_float_denorm_mode_16_64 3
		.amdhsa_dx10_clamp 1
		.amdhsa_ieee_mode 1
		.amdhsa_fp16_overflow 0
		.amdhsa_workgroup_processor_mode 1
		.amdhsa_memory_ordered 1
		.amdhsa_forward_progress 0
		.amdhsa_shared_vgpr_count 0
		.amdhsa_exception_fp_ieee_invalid_op 0
		.amdhsa_exception_fp_denorm_src 0
		.amdhsa_exception_fp_ieee_div_zero 0
		.amdhsa_exception_fp_ieee_overflow 0
		.amdhsa_exception_fp_ieee_underflow 0
		.amdhsa_exception_fp_ieee_inexact 0
		.amdhsa_exception_int_div_zero 0
	.end_amdhsa_kernel
	.section	.text._ZN4vllm15rms_norm_kernelIfLi8ELi4EEEvPT_PKS1_lllllS4_fii,"axG",@progbits,_ZN4vllm15rms_norm_kernelIfLi8ELi4EEEvPT_PKS1_lllllS4_fii,comdat
.Lfunc_end31:
	.size	_ZN4vllm15rms_norm_kernelIfLi8ELi4EEEvPT_PKS1_lllllS4_fii, .Lfunc_end31-_ZN4vllm15rms_norm_kernelIfLi8ELi4EEEvPT_PKS1_lllllS4_fii
                                        ; -- End function
	.section	.AMDGPU.csdata,"",@progbits
; Kernel info:
; codeLenInByte = 3700
; NumSgprs: 37
; NumVgprs: 21
; ScratchSize: 0
; MemoryBound: 0
; FloatMode: 240
; IeeeMode: 1
; LDSByteSize: 132 bytes/workgroup (compile time only)
; SGPRBlocks: 4
; VGPRBlocks: 2
; NumSGPRsForWavesPerEU: 37
; NumVGPRsForWavesPerEU: 21
; Occupancy: 16
; WaveLimiterHint : 0
; COMPUTE_PGM_RSRC2:SCRATCH_EN: 0
; COMPUTE_PGM_RSRC2:USER_SGPR: 15
; COMPUTE_PGM_RSRC2:TRAP_HANDLER: 0
; COMPUTE_PGM_RSRC2:TGID_X_EN: 1
; COMPUTE_PGM_RSRC2:TGID_Y_EN: 0
; COMPUTE_PGM_RSRC2:TGID_Z_EN: 0
; COMPUTE_PGM_RSRC2:TIDIG_COMP_CNT: 0
	.section	.text._ZN4vllm15rms_norm_kernelIfLi4ELi4EEEvPT_PKS1_lllllS4_fii,"axG",@progbits,_ZN4vllm15rms_norm_kernelIfLi4ELi4EEEvPT_PKS1_lllllS4_fii,comdat
	.protected	_ZN4vllm15rms_norm_kernelIfLi4ELi4EEEvPT_PKS1_lllllS4_fii ; -- Begin function _ZN4vllm15rms_norm_kernelIfLi4ELi4EEEvPT_PKS1_lllllS4_fii
	.globl	_ZN4vllm15rms_norm_kernelIfLi4ELi4EEEvPT_PKS1_lllllS4_fii
	.p2align	8
	.type	_ZN4vllm15rms_norm_kernelIfLi4ELi4EEEvPT_PKS1_lllllS4_fii,@function
_ZN4vllm15rms_norm_kernelIfLi4ELi4EEEvPT_PKS1_lllllS4_fii: ; @_ZN4vllm15rms_norm_kernelIfLi4ELi4EEEvPT_PKS1_lllllS4_fii
; %bb.0:
	s_clause 0x1
	s_load_b256 s[4:11], s[0:1], 0x10
	s_load_b64 s[2:3], s[0:1], 0x30
	s_waitcnt lgkmcnt(0)
	s_mul_i32 s12, s2, s11
	s_mul_hi_u32 s13, s2, s10
	s_mul_i32 s3, s3, s10
	s_add_i32 s13, s13, s12
	s_mov_b32 s12, 0
	s_add_i32 s13, s13, s3
	s_mul_i32 s14, s2, s10
	s_cmp_lg_u64 s[12:13], 0
	s_cbranch_scc0 .LBB32_36
; %bb.1:
	s_ashr_i32 s16, s13, 31
	s_delay_alu instid0(SALU_CYCLE_1) | instskip(SKIP_2) | instid1(SALU_CYCLE_1)
	s_add_u32 s2, s14, s16
	s_mov_b32 s17, s16
	s_addc_u32 s3, s13, s16
	s_xor_b64 s[2:3], s[2:3], s[16:17]
	s_delay_alu instid0(SALU_CYCLE_1) | instskip(SKIP_3) | instid1(VALU_DEP_1)
	v_cvt_f32_u32_e32 v1, s2
	v_cvt_f32_u32_e32 v2, s3
	s_sub_u32 s19, 0, s2
	s_subb_u32 s20, 0, s3
	v_fmamk_f32 v1, v2, 0x4f800000, v1
	s_delay_alu instid0(VALU_DEP_1) | instskip(SKIP_2) | instid1(VALU_DEP_1)
	v_rcp_f32_e32 v1, v1
	s_waitcnt_depctr 0xfff
	v_mul_f32_e32 v1, 0x5f7ffffc, v1
	v_mul_f32_e32 v2, 0x2f800000, v1
	s_delay_alu instid0(VALU_DEP_1) | instskip(NEXT) | instid1(VALU_DEP_1)
	v_trunc_f32_e32 v2, v2
	v_fmamk_f32 v1, v2, 0xcf800000, v1
	v_cvt_u32_f32_e32 v2, v2
	s_delay_alu instid0(VALU_DEP_2) | instskip(NEXT) | instid1(VALU_DEP_2)
	v_cvt_u32_f32_e32 v1, v1
	v_readfirstlane_b32 s13, v2
	s_delay_alu instid0(VALU_DEP_2) | instskip(NEXT) | instid1(VALU_DEP_2)
	v_readfirstlane_b32 s18, v1
	s_mul_i32 s21, s19, s13
	s_delay_alu instid0(VALU_DEP_1)
	s_mul_hi_u32 s23, s19, s18
	s_mul_i32 s22, s20, s18
	s_add_i32 s21, s23, s21
	s_mul_i32 s24, s19, s18
	s_add_i32 s21, s21, s22
	s_mul_hi_u32 s23, s18, s24
	s_mul_hi_u32 s25, s13, s24
	s_mul_i32 s22, s13, s24
	s_mul_hi_u32 s24, s18, s21
	s_mul_i32 s18, s18, s21
	s_mul_hi_u32 s26, s13, s21
	s_add_u32 s18, s23, s18
	s_addc_u32 s23, 0, s24
	s_add_u32 s18, s18, s22
	s_mul_i32 s21, s13, s21
	s_addc_u32 s18, s23, s25
	s_addc_u32 s22, s26, 0
	s_add_u32 s18, s18, s21
	s_addc_u32 s21, 0, s22
	v_add_co_u32 v1, s18, v1, s18
	s_delay_alu instid0(VALU_DEP_1) | instskip(SKIP_1) | instid1(VALU_DEP_1)
	s_cmp_lg_u32 s18, 0
	s_addc_u32 s13, s13, s21
	v_readfirstlane_b32 s18, v1
	s_mul_i32 s21, s19, s13
	s_delay_alu instid0(VALU_DEP_1)
	s_mul_hi_u32 s22, s19, s18
	s_mul_i32 s20, s20, s18
	s_add_i32 s21, s22, s21
	s_mul_i32 s19, s19, s18
	s_add_i32 s21, s21, s20
	s_mul_hi_u32 s22, s13, s19
	s_mul_i32 s23, s13, s19
	s_mul_hi_u32 s19, s18, s19
	s_mul_hi_u32 s24, s18, s21
	s_mul_i32 s18, s18, s21
	s_mul_hi_u32 s20, s13, s21
	s_add_u32 s18, s19, s18
	s_addc_u32 s19, 0, s24
	s_add_u32 s18, s18, s23
	s_mul_i32 s21, s13, s21
	s_addc_u32 s18, s19, s22
	s_addc_u32 s19, s20, 0
	s_add_u32 s18, s18, s21
	s_addc_u32 s19, 0, s19
	v_add_co_u32 v1, s18, v1, s18
	s_delay_alu instid0(VALU_DEP_1) | instskip(SKIP_1) | instid1(VALU_DEP_1)
	s_cmp_lg_u32 s18, 0
	s_addc_u32 s13, s13, s19
	v_readfirstlane_b32 s18, v1
	s_mul_i32 s19, s15, s13
	s_mul_hi_u32 s13, s15, s13
	s_delay_alu instid0(VALU_DEP_1) | instskip(NEXT) | instid1(SALU_CYCLE_1)
	s_mul_hi_u32 s18, s15, s18
	s_add_u32 s18, s18, s19
	s_addc_u32 s13, 0, s13
	s_add_u32 s18, s18, 0
	s_addc_u32 s13, s13, 0
	s_addc_u32 s18, 0, 0
	s_add_u32 s13, s13, 0
	s_addc_u32 s18, 0, s18
	s_mul_hi_u32 s19, s2, s13
	s_mul_i32 s21, s2, s18
	s_mul_i32 s22, s2, s13
	s_add_i32 s19, s19, s21
	v_sub_co_u32 v1, s21, s15, s22
	s_mul_i32 s20, s3, s13
	s_delay_alu instid0(SALU_CYCLE_1) | instskip(NEXT) | instid1(VALU_DEP_1)
	s_add_i32 s19, s19, s20
	v_sub_co_u32 v2, s22, v1, s2
	s_sub_i32 s20, 0, s19
	s_cmp_lg_u32 s21, 0
	s_subb_u32 s20, s20, s3
	s_cmp_lg_u32 s22, 0
	v_readfirstlane_b32 s22, v2
	s_subb_u32 s20, s20, 0
	s_delay_alu instid0(SALU_CYCLE_1) | instskip(SKIP_1) | instid1(VALU_DEP_1)
	s_cmp_ge_u32 s20, s3
	s_cselect_b32 s23, -1, 0
	s_cmp_ge_u32 s22, s2
	s_cselect_b32 s22, -1, 0
	s_cmp_eq_u32 s20, s3
	s_cselect_b32 s20, s22, s23
	s_add_u32 s22, s13, 1
	s_addc_u32 s23, s18, 0
	s_add_u32 s24, s13, 2
	s_addc_u32 s25, s18, 0
	s_cmp_lg_u32 s20, 0
	s_cselect_b32 s20, s24, s22
	s_cselect_b32 s22, s25, s23
	s_cmp_lg_u32 s21, 0
	v_readfirstlane_b32 s21, v1
	s_subb_u32 s19, 0, s19
	s_delay_alu instid0(SALU_CYCLE_1) | instskip(SKIP_1) | instid1(VALU_DEP_1)
	s_cmp_ge_u32 s19, s3
	s_cselect_b32 s23, -1, 0
	s_cmp_ge_u32 s21, s2
	s_cselect_b32 s2, -1, 0
	s_cmp_eq_u32 s19, s3
	s_cselect_b32 s2, s2, s23
	s_delay_alu instid0(SALU_CYCLE_1) | instskip(SKIP_2) | instid1(SALU_CYCLE_1)
	s_cmp_lg_u32 s2, 0
	s_cselect_b32 s3, s22, s18
	s_cselect_b32 s2, s20, s13
	s_xor_b64 s[2:3], s[2:3], s[16:17]
	s_delay_alu instid0(SALU_CYCLE_1)
	s_sub_u32 s2, s2, s16
	s_subb_u32 s3, s3, s16
	s_and_not1_b32 vcc_lo, exec_lo, s12
	s_cbranch_vccnz .LBB32_3
.LBB32_2:
	v_cvt_f32_u32_e32 v1, s14
	s_sub_i32 s3, 0, s14
	s_delay_alu instid0(VALU_DEP_1) | instskip(SKIP_2) | instid1(VALU_DEP_1)
	v_rcp_iflag_f32_e32 v1, v1
	s_waitcnt_depctr 0xfff
	v_mul_f32_e32 v1, 0x4f7ffffe, v1
	v_cvt_u32_f32_e32 v1, v1
	s_delay_alu instid0(VALU_DEP_1) | instskip(NEXT) | instid1(VALU_DEP_1)
	v_readfirstlane_b32 s2, v1
	s_mul_i32 s3, s3, s2
	s_delay_alu instid0(SALU_CYCLE_1) | instskip(NEXT) | instid1(SALU_CYCLE_1)
	s_mul_hi_u32 s3, s2, s3
	s_add_i32 s2, s2, s3
	s_delay_alu instid0(SALU_CYCLE_1) | instskip(NEXT) | instid1(SALU_CYCLE_1)
	s_mul_hi_u32 s2, s15, s2
	s_mul_i32 s3, s2, s14
	s_add_i32 s12, s2, 1
	s_sub_i32 s3, s15, s3
	s_delay_alu instid0(SALU_CYCLE_1)
	s_sub_i32 s13, s3, s14
	s_cmp_ge_u32 s3, s14
	s_cselect_b32 s2, s12, s2
	s_cselect_b32 s3, s13, s3
	s_add_i32 s12, s2, 1
	s_cmp_ge_u32 s3, s14
	s_mov_b32 s3, 0
	s_cselect_b32 s2, s12, s2
.LBB32_3:
	s_load_b64 s[12:13], s[0:1], 0x8
	s_mul_i32 s14, s2, s14
	s_delay_alu instid0(SALU_CYCLE_1) | instskip(NEXT) | instid1(SALU_CYCLE_1)
	s_sub_i32 s16, s15, s14
	s_ashr_i32 s17, s16, 31
	s_delay_alu instid0(SALU_CYCLE_1) | instskip(SKIP_1) | instid1(SALU_CYCLE_1)
	s_or_b64 s[18:19], s[16:17], s[10:11]
	s_mov_b32 s18, 0
	s_cmp_lg_u64 s[18:19], 0
	s_cbranch_scc0 .LBB32_37
; %bb.4:
	s_ashr_i32 s20, s11, 31
	s_delay_alu instid0(SALU_CYCLE_1) | instskip(SKIP_2) | instid1(SALU_CYCLE_1)
	s_add_u32 s22, s10, s20
	s_mov_b32 s21, s20
	s_addc_u32 s23, s11, s20
	s_xor_b64 s[22:23], s[22:23], s[20:21]
	s_delay_alu instid0(SALU_CYCLE_1) | instskip(SKIP_3) | instid1(VALU_DEP_1)
	v_cvt_f32_u32_e32 v1, s22
	v_cvt_f32_u32_e32 v2, s23
	s_sub_u32 s25, 0, s22
	s_subb_u32 s26, 0, s23
	v_fmamk_f32 v1, v2, 0x4f800000, v1
	s_delay_alu instid0(VALU_DEP_1) | instskip(SKIP_2) | instid1(VALU_DEP_1)
	v_rcp_f32_e32 v1, v1
	s_waitcnt_depctr 0xfff
	v_mul_f32_e32 v1, 0x5f7ffffc, v1
	v_mul_f32_e32 v2, 0x2f800000, v1
	s_delay_alu instid0(VALU_DEP_1) | instskip(NEXT) | instid1(VALU_DEP_1)
	v_trunc_f32_e32 v2, v2
	v_fmamk_f32 v1, v2, 0xcf800000, v1
	v_cvt_u32_f32_e32 v2, v2
	s_delay_alu instid0(VALU_DEP_2) | instskip(NEXT) | instid1(VALU_DEP_2)
	v_cvt_u32_f32_e32 v1, v1
	v_readfirstlane_b32 s14, v2
	s_delay_alu instid0(VALU_DEP_2) | instskip(NEXT) | instid1(VALU_DEP_2)
	v_readfirstlane_b32 s19, v1
	s_mul_i32 s24, s25, s14
	s_delay_alu instid0(VALU_DEP_1)
	s_mul_hi_u32 s28, s25, s19
	s_mul_i32 s27, s26, s19
	s_add_i32 s24, s28, s24
	s_mul_i32 s29, s25, s19
	s_add_i32 s24, s24, s27
	s_mul_hi_u32 s28, s19, s29
	s_mul_hi_u32 s30, s14, s29
	s_mul_i32 s27, s14, s29
	s_mul_hi_u32 s29, s19, s24
	s_mul_i32 s19, s19, s24
	s_mul_hi_u32 s31, s14, s24
	s_add_u32 s19, s28, s19
	s_addc_u32 s28, 0, s29
	s_add_u32 s19, s19, s27
	s_mul_i32 s24, s14, s24
	s_addc_u32 s19, s28, s30
	s_addc_u32 s27, s31, 0
	s_add_u32 s19, s19, s24
	s_addc_u32 s24, 0, s27
	v_add_co_u32 v1, s19, v1, s19
	s_delay_alu instid0(VALU_DEP_1) | instskip(SKIP_1) | instid1(VALU_DEP_1)
	s_cmp_lg_u32 s19, 0
	s_addc_u32 s14, s14, s24
	v_readfirstlane_b32 s19, v1
	s_mul_i32 s27, s25, s14
	s_mov_b32 s24, s17
	s_delay_alu instid0(VALU_DEP_1)
	s_mul_hi_u32 s28, s25, s19
	s_mul_i32 s26, s26, s19
	s_add_i32 s27, s28, s27
	s_mul_i32 s25, s25, s19
	s_add_i32 s27, s27, s26
	s_mul_hi_u32 s28, s14, s25
	s_mul_i32 s29, s14, s25
	s_mul_hi_u32 s25, s19, s25
	s_mul_hi_u32 s30, s19, s27
	s_mul_i32 s19, s19, s27
	s_mul_hi_u32 s26, s14, s27
	s_add_u32 s19, s25, s19
	s_addc_u32 s25, 0, s30
	s_add_u32 s19, s19, s29
	s_mul_i32 s27, s14, s27
	s_addc_u32 s19, s25, s28
	s_addc_u32 s25, s26, 0
	s_add_u32 s19, s19, s27
	s_addc_u32 s26, 0, s25
	v_add_co_u32 v1, s19, v1, s19
	s_delay_alu instid0(VALU_DEP_1)
	s_cmp_lg_u32 s19, 0
	s_mov_b32 s25, s17
	s_addc_u32 s14, s14, s26
	s_add_u32 s26, s16, s17
	v_readfirstlane_b32 s19, v1
	s_addc_u32 s27, s17, s17
	s_delay_alu instid0(SALU_CYCLE_1) | instskip(NEXT) | instid1(SALU_CYCLE_1)
	s_xor_b64 s[26:27], s[26:27], s[24:25]
	s_mul_i32 s29, s26, s14
	s_delay_alu instid0(VALU_DEP_1)
	s_mul_hi_u32 s30, s26, s19
	s_mul_hi_u32 s28, s26, s14
	;; [unrolled: 1-line block ×3, first 2 shown]
	s_mul_i32 s19, s27, s19
	s_add_u32 s29, s30, s29
	s_addc_u32 s28, 0, s28
	s_mul_hi_u32 s31, s27, s14
	s_add_u32 s19, s29, s19
	s_mul_i32 s14, s27, s14
	s_addc_u32 s19, s28, s33
	s_addc_u32 s28, s31, 0
	s_add_u32 s14, s19, s14
	s_addc_u32 s19, 0, s28
	s_mul_i32 s31, s22, s14
	s_mul_hi_u32 s28, s22, s14
	s_mul_i32 s30, s22, s19
	v_sub_co_u32 v1, s26, s26, s31
	s_mul_i32 s29, s23, s14
	s_add_i32 s28, s28, s30
	s_delay_alu instid0(SALU_CYCLE_1) | instskip(NEXT) | instid1(VALU_DEP_1)
	s_add_i32 s28, s28, s29
	v_sub_co_u32 v2, s30, v1, s22
	s_sub_i32 s29, s27, s28
	s_cmp_lg_u32 s26, 0
	s_subb_u32 s29, s29, s23
	s_cmp_lg_u32 s30, 0
	v_readfirstlane_b32 s30, v2
	s_subb_u32 s29, s29, 0
	s_delay_alu instid0(SALU_CYCLE_1) | instskip(SKIP_1) | instid1(VALU_DEP_1)
	s_cmp_ge_u32 s29, s23
	s_cselect_b32 s31, -1, 0
	s_cmp_ge_u32 s30, s22
	s_cselect_b32 s30, -1, 0
	s_cmp_eq_u32 s29, s23
	s_cselect_b32 s29, s30, s31
	s_add_u32 s30, s14, 1
	s_addc_u32 s31, s19, 0
	s_add_u32 s33, s14, 2
	s_addc_u32 s34, s19, 0
	s_cmp_lg_u32 s29, 0
	s_cselect_b32 s29, s33, s30
	s_cselect_b32 s30, s34, s31
	s_cmp_lg_u32 s26, 0
	v_readfirstlane_b32 s26, v1
	s_subb_u32 s27, s27, s28
	s_delay_alu instid0(SALU_CYCLE_1) | instskip(SKIP_1) | instid1(VALU_DEP_1)
	s_cmp_ge_u32 s27, s23
	s_cselect_b32 s28, -1, 0
	s_cmp_ge_u32 s26, s22
	s_cselect_b32 s22, -1, 0
	s_cmp_eq_u32 s27, s23
	s_cselect_b32 s22, s22, s28
	s_delay_alu instid0(SALU_CYCLE_1) | instskip(SKIP_3) | instid1(SALU_CYCLE_1)
	s_cmp_lg_u32 s22, 0
	s_cselect_b32 s23, s30, s19
	s_cselect_b32 s22, s29, s14
	s_xor_b64 s[20:21], s[24:25], s[20:21]
	s_xor_b64 s[22:23], s[22:23], s[20:21]
	s_delay_alu instid0(SALU_CYCLE_1)
	s_sub_u32 s20, s22, s20
	s_subb_u32 s21, s23, s21
	s_and_not1_b32 vcc_lo, exec_lo, s18
	s_cbranch_vccnz .LBB32_6
.LBB32_5:
	v_cvt_f32_u32_e32 v1, s10
	s_sub_i32 s18, 0, s10
	s_mov_b32 s21, 0
	s_delay_alu instid0(VALU_DEP_1) | instskip(SKIP_2) | instid1(VALU_DEP_1)
	v_rcp_iflag_f32_e32 v1, v1
	s_waitcnt_depctr 0xfff
	v_mul_f32_e32 v1, 0x4f7ffffe, v1
	v_cvt_u32_f32_e32 v1, v1
	s_delay_alu instid0(VALU_DEP_1) | instskip(NEXT) | instid1(VALU_DEP_1)
	v_readfirstlane_b32 s14, v1
	s_mul_i32 s18, s18, s14
	s_delay_alu instid0(SALU_CYCLE_1) | instskip(NEXT) | instid1(SALU_CYCLE_1)
	s_mul_hi_u32 s18, s14, s18
	s_add_i32 s14, s14, s18
	s_delay_alu instid0(SALU_CYCLE_1) | instskip(NEXT) | instid1(SALU_CYCLE_1)
	s_mul_hi_u32 s14, s16, s14
	s_mul_i32 s18, s14, s10
	s_add_i32 s19, s14, 1
	s_sub_i32 s18, s16, s18
	s_delay_alu instid0(SALU_CYCLE_1)
	s_sub_i32 s20, s18, s10
	s_cmp_ge_u32 s18, s10
	s_cselect_b32 s14, s19, s14
	s_cselect_b32 s18, s20, s18
	s_add_i32 s19, s14, 1
	s_cmp_ge_u32 s18, s10
	s_cselect_b32 s20, s19, s14
.LBB32_6:
	s_delay_alu instid0(SALU_CYCLE_1)
	s_mul_i32 s11, s20, s11
	s_mul_hi_u32 s14, s20, s10
	s_mul_i32 s9, s2, s9
	s_add_i32 s11, s14, s11
	s_mul_i32 s14, s21, s10
	s_mul_i32 s10, s20, s10
	s_add_i32 s11, s11, s14
	s_sub_u32 s14, s16, s10
	s_subb_u32 s16, s17, s11
	s_mul_hi_u32 s17, s2, s8
	s_bfe_i64 s[10:11], s[2:3], 0x200000
	s_add_i32 s3, s17, s9
	s_mul_i32 s9, s11, s8
	s_mul_i32 s2, s2, s8
	s_add_i32 s3, s3, s9
	s_mul_i32 s7, s20, s7
	s_lshl_b64 s[8:9], s[2:3], 2
	s_mul_hi_u32 s17, s20, s6
	s_waitcnt lgkmcnt(0)
	s_add_u32 s10, s12, s8
	s_addc_u32 s11, s13, s9
	s_bfe_i64 s[2:3], s[20:21], 0x200000
	s_add_i32 s2, s17, s7
	s_mul_i32 s3, s3, s6
	s_load_b32 s17, s[0:1], 0x5c
	s_add_i32 s3, s2, s3
	s_mul_i32 s2, s20, s6
	s_mul_i32 s5, s14, s5
	s_lshl_b64 s[6:7], s[2:3], 2
	s_load_b32 s3, s[0:1], 0x48
	s_add_u32 s2, s10, s6
	s_mul_hi_u32 s10, s14, s4
	s_addc_u32 s11, s11, s7
	s_add_i32 s5, s10, s5
	s_mul_i32 s16, s16, s4
	s_mul_i32 s4, s14, s4
	s_add_i32 s5, s5, s16
	s_delay_alu instid0(SALU_CYCLE_1) | instskip(NEXT) | instid1(SALU_CYCLE_1)
	s_lshl_b64 s[4:5], s[4:5], 2
	s_add_u32 s14, s2, s4
	s_addc_u32 s16, s11, s5
	s_and_b32 s10, s14, 15
	s_mov_b32 s11, 0
	s_waitcnt lgkmcnt(0)
	s_and_b32 s17, s17, 0xffff
	s_cmp_lg_u64 s[10:11], 0
	s_cselect_b32 s2, -1, 0
	s_and_b32 s10, s3, 3
	s_delay_alu instid0(SALU_CYCLE_1) | instskip(SKIP_1) | instid1(SALU_CYCLE_1)
	s_cmp_lg_u32 s10, 0
	s_cselect_b32 s10, -1, 0
	s_or_b32 s2, s10, s2
	s_delay_alu instid0(SALU_CYCLE_1)
	s_and_b32 vcc_lo, exec_lo, s2
	s_cbranch_vccz .LBB32_20
; %bb.7:
	s_sub_i32 s2, 0, s14
	v_mov_b32_e32 v4, 0
	s_bfe_u32 s2, s2, 0x20002
	s_mov_b32 s11, exec_lo
	s_min_i32 s10, s2, s3
	s_delay_alu instid0(SALU_CYCLE_1)
	v_cmpx_gt_i32_e64 s10, v0
	s_cbranch_execz .LBB32_11
; %bb.8:
	s_add_u32 s2, s4, s8
	s_addc_u32 s18, s5, s9
	v_dual_mov_b32 v4, 0 :: v_dual_lshlrev_b32 v1, 2, v0
	s_add_u32 s2, s2, s6
	s_addc_u32 s18, s18, s7
	s_add_u32 s2, s12, s2
	s_addc_u32 s18, s13, s18
	v_add_co_u32 v1, s2, s2, v1
	s_delay_alu instid0(VALU_DEP_1)
	v_add_co_ci_u32_e64 v2, null, s18, 0, s2
	v_mov_b32_e32 v3, v0
	s_mov_b32 s18, 0
	s_lshl_b32 s19, s17, 2
.LBB32_9:                               ; =>This Inner Loop Header: Depth=1
	global_load_b32 v5, v[1:2], off
	v_add_nc_u32_e32 v3, s17, v3
	v_add_co_u32 v1, vcc_lo, v1, s19
	v_add_co_ci_u32_e32 v2, vcc_lo, 0, v2, vcc_lo
	s_waitcnt vmcnt(0)
	v_fmac_f32_e32 v4, v5, v5
	v_cmp_le_i32_e64 s2, s10, v3
	s_delay_alu instid0(VALU_DEP_1) | instskip(NEXT) | instid1(SALU_CYCLE_1)
	s_or_b32 s18, s2, s18
	s_and_not1_b32 exec_lo, exec_lo, s18
	s_cbranch_execnz .LBB32_9
; %bb.10:
	s_or_b32 exec_lo, exec_lo, s18
.LBB32_11:
	s_delay_alu instid0(SALU_CYCLE_1)
	s_or_b32 exec_lo, exec_lo, s11
	s_sub_i32 s18, s3, s10
	s_ashr_i32 s11, s10, 31
	s_ashr_i32 s2, s18, 31
	s_mov_b32 s20, exec_lo
	s_lshr_b32 s2, s2, 30
	s_delay_alu instid0(SALU_CYCLE_1) | instskip(NEXT) | instid1(SALU_CYCLE_1)
	s_add_i32 s2, s18, s2
	s_ashr_i32 s19, s2, 2
	s_delay_alu instid0(SALU_CYCLE_1)
	v_cmpx_gt_i32_e64 s19, v0
	s_cbranch_execz .LBB32_15
; %bb.12:
	s_add_u32 s2, s4, s8
	s_addc_u32 s21, s5, s9
	s_add_u32 s2, s2, s6
	s_addc_u32 s21, s21, s7
	s_lshl_b64 s[22:23], s[10:11], 2
	v_lshlrev_b32_e32 v1, 4, v0
	s_add_u32 s22, s12, s22
	s_addc_u32 s23, s13, s23
	s_add_u32 s2, s22, s2
	s_addc_u32 s21, s23, s21
	v_add_co_u32 v1, s2, s2, v1
	s_delay_alu instid0(VALU_DEP_1)
	v_add_co_ci_u32_e64 v2, null, s21, 0, s2
	v_mov_b32_e32 v3, v0
	s_mov_b32 s21, 0
	s_lshl_b32 s22, s17, 4
.LBB32_13:                              ; =>This Inner Loop Header: Depth=1
	global_load_b128 v[5:8], v[1:2], off
	v_add_co_u32 v1, vcc_lo, v1, s22
	v_add_co_ci_u32_e32 v2, vcc_lo, 0, v2, vcc_lo
	v_add_nc_u32_e32 v3, s17, v3
	s_delay_alu instid0(VALU_DEP_1) | instskip(NEXT) | instid1(VALU_DEP_1)
	v_cmp_le_i32_e64 s2, s19, v3
	s_or_b32 s21, s2, s21
	s_waitcnt vmcnt(0)
	v_fmac_f32_e32 v4, v5, v5
	s_delay_alu instid0(VALU_DEP_1) | instskip(NEXT) | instid1(VALU_DEP_1)
	v_fmac_f32_e32 v4, v6, v6
	v_fmac_f32_e32 v4, v7, v7
	s_delay_alu instid0(VALU_DEP_1)
	v_fmac_f32_e32 v4, v8, v8
	s_and_not1_b32 exec_lo, exec_lo, s21
	s_cbranch_execnz .LBB32_13
; %bb.14:
	s_or_b32 exec_lo, exec_lo, s21
.LBB32_15:
	s_delay_alu instid0(SALU_CYCLE_1) | instskip(SKIP_2) | instid1(VALU_DEP_1)
	s_or_b32 exec_lo, exec_lo, s20
	v_lshl_add_u32 v1, s19, 2, v0
	s_mov_b32 s19, exec_lo
	v_cmpx_gt_i32_e64 s18, v1
	s_cbranch_execz .LBB32_19
; %bb.16:
	v_ashrrev_i32_e32 v2, 31, v1
	s_add_u32 s2, s4, s8
	s_addc_u32 s20, s5, s9
	s_add_u32 s2, s2, s6
	s_addc_u32 s20, s20, s7
	s_lshl_b64 s[10:11], s[10:11], 2
	v_lshlrev_b64 v[2:3], 2, v[1:2]
	s_add_u32 s2, s2, s10
	s_addc_u32 s10, s20, s11
	s_add_u32 s2, s12, s2
	s_addc_u32 s10, s13, s10
	s_lshl_b32 s11, s17, 2
	v_add_co_u32 v2, vcc_lo, s2, v2
	v_add_co_ci_u32_e32 v3, vcc_lo, s10, v3, vcc_lo
	s_mov_b32 s10, 0
.LBB32_17:                              ; =>This Inner Loop Header: Depth=1
	global_load_b32 v5, v[2:3], off
	v_add_nc_u32_e32 v1, s17, v1
	v_add_co_u32 v2, vcc_lo, v2, s11
	v_add_co_ci_u32_e32 v3, vcc_lo, 0, v3, vcc_lo
	s_delay_alu instid0(VALU_DEP_3) | instskip(NEXT) | instid1(VALU_DEP_1)
	v_cmp_le_i32_e64 s2, s18, v1
	s_or_b32 s10, s2, s10
	s_waitcnt vmcnt(0)
	v_fmac_f32_e32 v4, v5, v5
	s_and_not1_b32 exec_lo, exec_lo, s10
	s_cbranch_execnz .LBB32_17
; %bb.18:
	s_or_b32 exec_lo, exec_lo, s10
.LBB32_19:
	s_delay_alu instid0(SALU_CYCLE_1)
	s_or_b32 exec_lo, exec_lo, s19
	s_branch .LBB32_26
.LBB32_20:
                                        ; implicit-def: $vgpr4
	s_cbranch_execz .LBB32_26
; %bb.21:
	v_mov_b32_e32 v4, 0
	s_ashr_i32 s11, s3, 2
	s_mov_b32 s10, exec_lo
	v_cmpx_gt_i32_e64 s11, v0
	s_cbranch_execz .LBB32_25
; %bb.22:
	s_add_u32 s2, s4, s8
	s_addc_u32 s4, s5, s9
	v_dual_mov_b32 v4, 0 :: v_dual_lshlrev_b32 v1, 4, v0
	s_add_u32 s2, s2, s6
	s_addc_u32 s4, s4, s7
	s_add_u32 s2, s12, s2
	s_addc_u32 s4, s13, s4
	v_add_co_u32 v1, s2, s2, v1
	s_delay_alu instid0(VALU_DEP_1)
	v_add_co_ci_u32_e64 v2, null, s4, 0, s2
	v_mov_b32_e32 v3, v0
	s_mov_b32 s4, 0
	s_lshl_b32 s5, s17, 4
.LBB32_23:                              ; =>This Inner Loop Header: Depth=1
	global_load_b128 v[5:8], v[1:2], off
	v_add_co_u32 v1, vcc_lo, v1, s5
	v_add_co_ci_u32_e32 v2, vcc_lo, 0, v2, vcc_lo
	v_add_nc_u32_e32 v3, s17, v3
	s_delay_alu instid0(VALU_DEP_1) | instskip(NEXT) | instid1(VALU_DEP_1)
	v_cmp_le_i32_e64 s2, s11, v3
	s_or_b32 s4, s2, s4
	s_waitcnt vmcnt(0)
	v_fmac_f32_e32 v4, v5, v5
	s_delay_alu instid0(VALU_DEP_1) | instskip(NEXT) | instid1(VALU_DEP_1)
	v_fmac_f32_e32 v4, v6, v6
	v_fmac_f32_e32 v4, v7, v7
	s_delay_alu instid0(VALU_DEP_1)
	v_fmac_f32_e32 v4, v8, v8
	s_and_not1_b32 exec_lo, exec_lo, s4
	s_cbranch_execnz .LBB32_23
; %bb.24:
	s_or_b32 exec_lo, exec_lo, s4
.LBB32_25:
	s_delay_alu instid0(SALU_CYCLE_1)
	s_or_b32 exec_lo, exec_lo, s10
.LBB32_26:
	v_mbcnt_lo_u32_b32 v1, -1, 0
	v_and_b32_e32 v3, 0x3e0, v0
	s_mov_b32 s2, exec_lo
	s_delay_alu instid0(VALU_DEP_2) | instskip(NEXT) | instid1(VALU_DEP_2)
	v_cmp_ne_u32_e32 vcc_lo, 31, v1
	v_sub_nc_u32_e64 v12, s17, v3 clamp
	v_add_nc_u32_e32 v3, 1, v1
	v_add_co_ci_u32_e32 v2, vcc_lo, 0, v1, vcc_lo
	v_cmp_gt_u32_e32 vcc_lo, 30, v1
	s_delay_alu instid0(VALU_DEP_2)
	v_lshlrev_b32_e32 v2, 2, v2
	v_cndmask_b32_e64 v6, 0, 1, vcc_lo
	v_cmp_lt_u32_e32 vcc_lo, v3, v12
	ds_bpermute_b32 v5, v2, v4
	s_waitcnt lgkmcnt(0)
	v_dual_add_f32 v7, v4, v5 :: v_dual_lshlrev_b32 v6, 1, v6
	s_delay_alu instid0(VALU_DEP_1) | instskip(NEXT) | instid1(VALU_DEP_2)
	v_cndmask_b32_e32 v7, v4, v7, vcc_lo
	v_add_lshl_u32 v5, v6, v1, 2
	v_cmp_gt_u32_e32 vcc_lo, 28, v1
	ds_bpermute_b32 v6, v5, v7
	v_cndmask_b32_e64 v4, 0, 1, vcc_lo
	s_delay_alu instid0(VALU_DEP_1) | instskip(SKIP_1) | instid1(VALU_DEP_1)
	v_lshlrev_b32_e32 v8, 2, v4
	v_add_nc_u32_e32 v4, 2, v1
	v_cmp_lt_u32_e32 vcc_lo, v4, v12
	s_waitcnt lgkmcnt(0)
	v_add_f32_e32 v9, v7, v6
	v_add_lshl_u32 v6, v8, v1, 2
	s_delay_alu instid0(VALU_DEP_2) | instskip(SKIP_2) | instid1(VALU_DEP_1)
	v_cndmask_b32_e32 v9, v7, v9, vcc_lo
	v_cmp_gt_u32_e32 vcc_lo, 24, v1
	v_cndmask_b32_e64 v7, 0, 1, vcc_lo
	v_lshlrev_b32_e32 v10, 3, v7
	ds_bpermute_b32 v8, v6, v9
	v_add_nc_u32_e32 v7, 4, v1
	s_delay_alu instid0(VALU_DEP_1) | instskip(SKIP_3) | instid1(VALU_DEP_2)
	v_cmp_lt_u32_e32 vcc_lo, v7, v12
	s_waitcnt lgkmcnt(0)
	v_add_f32_e32 v11, v9, v8
	v_add_lshl_u32 v8, v10, v1, 2
	v_cndmask_b32_e32 v11, v9, v11, vcc_lo
	v_cmp_gt_u32_e32 vcc_lo, 16, v1
	ds_bpermute_b32 v10, v8, v11
	v_cndmask_b32_e64 v9, 0, 1, vcc_lo
	s_delay_alu instid0(VALU_DEP_1) | instskip(SKIP_1) | instid1(VALU_DEP_1)
	v_lshlrev_b32_e32 v13, 4, v9
	v_add_nc_u32_e32 v9, 8, v1
	v_cmp_lt_u32_e32 vcc_lo, v9, v12
	s_waitcnt lgkmcnt(0)
	v_add_f32_e32 v14, v11, v10
	v_add_lshl_u32 v10, v13, v1, 2
	s_delay_alu instid0(VALU_DEP_2)
	v_cndmask_b32_e32 v13, v11, v14, vcc_lo
	v_add_nc_u32_e32 v11, 16, v1
	ds_bpermute_b32 v14, v10, v13
	v_cmp_lt_u32_e32 vcc_lo, v11, v12
	s_waitcnt lgkmcnt(0)
	v_add_f32_e32 v14, v13, v14
	s_delay_alu instid0(VALU_DEP_1)
	v_cndmask_b32_e32 v12, v13, v14, vcc_lo
	v_cmpx_eq_u32_e32 0, v1
	s_cbranch_execz .LBB32_28
; %bb.27:
	v_lshrrev_b32_e32 v13, 3, v0
	s_delay_alu instid0(VALU_DEP_1)
	v_and_b32_e32 v13, 0x7c, v13
	ds_store_b32 v13, v12
.LBB32_28:
	s_or_b32 exec_lo, exec_lo, s2
	s_delay_alu instid0(SALU_CYCLE_1)
	s_mov_b32 s2, exec_lo
	s_waitcnt lgkmcnt(0)
	s_barrier
	buffer_gl0_inv
	v_cmpx_gt_u32_e32 32, v0
	s_cbranch_execz .LBB32_30
; %bb.29:
	v_lshlrev_b32_e32 v1, 2, v1
	s_add_i32 s4, s17, 31
	s_delay_alu instid0(SALU_CYCLE_1) | instskip(NEXT) | instid1(SALU_CYCLE_1)
	s_lshr_b32 s4, s4, 5
	v_cmp_gt_u32_e32 vcc_lo, s4, v3
	ds_load_b32 v1, v1
	s_waitcnt lgkmcnt(0)
	ds_bpermute_b32 v2, v2, v1
	s_waitcnt lgkmcnt(0)
	v_add_f32_e32 v2, v1, v2
	s_delay_alu instid0(VALU_DEP_1) | instskip(SKIP_4) | instid1(VALU_DEP_1)
	v_cndmask_b32_e32 v1, v1, v2, vcc_lo
	v_cmp_gt_u32_e32 vcc_lo, s4, v4
	ds_bpermute_b32 v2, v5, v1
	s_waitcnt lgkmcnt(0)
	v_add_f32_e32 v2, v1, v2
	v_cndmask_b32_e32 v1, v1, v2, vcc_lo
	v_cmp_gt_u32_e32 vcc_lo, s4, v7
	ds_bpermute_b32 v2, v6, v1
	s_waitcnt lgkmcnt(0)
	v_add_f32_e32 v2, v1, v2
	s_delay_alu instid0(VALU_DEP_1) | instskip(SKIP_4) | instid1(VALU_DEP_1)
	v_cndmask_b32_e32 v1, v1, v2, vcc_lo
	v_cmp_gt_u32_e32 vcc_lo, s4, v9
	ds_bpermute_b32 v2, v8, v1
	s_waitcnt lgkmcnt(0)
	v_add_f32_e32 v2, v1, v2
	v_cndmask_b32_e32 v1, v1, v2, vcc_lo
	v_cmp_gt_u32_e32 vcc_lo, s4, v11
	ds_bpermute_b32 v2, v10, v1
	s_waitcnt lgkmcnt(0)
	v_add_f32_e32 v2, v1, v2
	s_delay_alu instid0(VALU_DEP_1)
	v_cndmask_b32_e32 v12, v1, v2, vcc_lo
.LBB32_30:
	s_or_b32 exec_lo, exec_lo, s2
	s_delay_alu instid0(SALU_CYCLE_1)
	s_mov_b32 s2, exec_lo
	v_cmpx_eq_u32_e32 0, v0
	s_cbranch_execz .LBB32_32
; %bb.31:
	v_cvt_f32_i32_e32 v1, s3
	s_load_b32 s4, s[0:1], 0x40
	s_delay_alu instid0(VALU_DEP_1) | instskip(SKIP_1) | instid1(VALU_DEP_2)
	v_div_scale_f32 v2, null, v1, v1, v12
	v_div_scale_f32 v5, vcc_lo, v12, v1, v12
	v_rcp_f32_e32 v3, v2
	s_waitcnt_depctr 0xfff
	v_fma_f32 v4, -v2, v3, 1.0
	s_delay_alu instid0(VALU_DEP_1) | instskip(NEXT) | instid1(VALU_DEP_1)
	v_fmac_f32_e32 v3, v4, v3
	v_mul_f32_e32 v4, v5, v3
	s_delay_alu instid0(VALU_DEP_1) | instskip(NEXT) | instid1(VALU_DEP_1)
	v_fma_f32 v6, -v2, v4, v5
	v_fmac_f32_e32 v4, v6, v3
	s_delay_alu instid0(VALU_DEP_1) | instskip(NEXT) | instid1(VALU_DEP_1)
	v_fma_f32 v2, -v2, v4, v5
	v_div_fmas_f32 v2, v2, v3, v4
	s_delay_alu instid0(VALU_DEP_1) | instskip(SKIP_1) | instid1(VALU_DEP_1)
	v_div_fixup_f32 v1, v2, v1, v12
	s_waitcnt lgkmcnt(0)
	v_add_f32_e32 v1, s4, v1
	s_delay_alu instid0(VALU_DEP_1) | instskip(SKIP_1) | instid1(VALU_DEP_2)
	v_mul_f32_e32 v2, 0x4b800000, v1
	v_cmp_gt_f32_e32 vcc_lo, 0x800000, v1
	v_cndmask_b32_e32 v1, v1, v2, vcc_lo
	s_delay_alu instid0(VALU_DEP_1) | instskip(SKIP_2) | instid1(VALU_DEP_1)
	v_rsq_f32_e32 v1, v1
	s_waitcnt_depctr 0xfff
	v_mul_f32_e32 v2, 0x45800000, v1
	v_dual_cndmask_b32 v1, v1, v2 :: v_dual_mov_b32 v2, 0
	ds_store_b32 v2, v1 offset:128
.LBB32_32:
	s_or_b32 exec_lo, exec_lo, s2
	s_ashr_i32 s2, s3, 31
	s_waitcnt lgkmcnt(0)
	s_lshr_b32 s2, s2, 30
	s_barrier
	s_add_i32 s2, s3, s2
	buffer_gl0_inv
	s_ashr_i32 s4, s2, 2
	s_mov_b32 s2, exec_lo
	v_cmpx_gt_i32_e64 s4, v0
	s_cbranch_execz .LBB32_35
; %bb.33:
	v_dual_mov_b32 v1, 0 :: v_dual_lshlrev_b32 v2, 4, v0
	s_clause 0x1
	s_load_b64 s[6:7], s[0:1], 0x0
	s_load_b64 s[0:1], s[0:1], 0x38
	s_mul_i32 s2, s15, s3
	s_mov_b32 s3, 0
	ds_load_b32 v1, v1 offset:128
	s_lshl_b64 s[8:9], s[2:3], 2
	s_waitcnt lgkmcnt(0)
	s_add_u32 s2, s6, s8
	s_addc_u32 s5, s7, s9
	s_lshl_b32 s6, s17, 4
	s_set_inst_prefetch_distance 0x1
	.p2align	6
.LBB32_34:                              ; =>This Inner Loop Header: Depth=1
	v_add_co_u32 v3, s7, s14, v2
	s_delay_alu instid0(VALU_DEP_1) | instskip(SKIP_1) | instid1(VALU_DEP_1)
	v_add_co_ci_u32_e64 v4, null, s16, 0, s7
	v_add_co_u32 v7, s7, s0, v2
	v_add_co_ci_u32_e64 v8, null, s1, 0, s7
	global_load_b128 v[3:6], v[3:4], off
	global_load_b128 v[7:10], v[7:8], off
	v_add_nc_u32_e32 v0, s17, v0
	v_add_co_u32 v11, s7, s2, v2
	s_add_u32 s2, s2, s6
	v_add_co_ci_u32_e64 v12, null, s5, 0, s7
	s_addc_u32 s5, s5, 0
	s_add_u32 s14, s14, s6
	s_addc_u32 s16, s16, 0
	s_add_u32 s0, s0, s6
	s_addc_u32 s1, s1, 0
	s_waitcnt vmcnt(1)
	v_mul_f32_e32 v3, v3, v1
	v_mul_f32_e32 v4, v4, v1
	;; [unrolled: 1-line block ×3, first 2 shown]
	v_cmp_le_i32_e32 vcc_lo, s4, v0
	s_waitcnt vmcnt(0)
	v_mul_f32_e32 v3, v3, v7
	v_dual_mul_f32 v5, v5, v1 :: v_dual_mul_f32 v4, v4, v8
	v_mul_f32_e32 v6, v6, v10
	s_or_b32 s3, vcc_lo, s3
	s_delay_alu instid0(VALU_DEP_2)
	v_mul_f32_e32 v5, v5, v9
	global_store_b128 v[11:12], v[3:6], off
	s_and_not1_b32 exec_lo, exec_lo, s3
	s_cbranch_execnz .LBB32_34
.LBB32_35:
	s_set_inst_prefetch_distance 0x2
	s_nop 0
	s_sendmsg sendmsg(MSG_DEALLOC_VGPRS)
	s_endpgm
.LBB32_36:
                                        ; implicit-def: $sgpr2_sgpr3
	s_branch .LBB32_2
.LBB32_37:
                                        ; implicit-def: $sgpr20_sgpr21
	s_branch .LBB32_5
	.section	.rodata,"a",@progbits
	.p2align	6, 0x0
	.amdhsa_kernel _ZN4vllm15rms_norm_kernelIfLi4ELi4EEEvPT_PKS1_lllllS4_fii
		.amdhsa_group_segment_fixed_size 132
		.amdhsa_private_segment_fixed_size 0
		.amdhsa_kernarg_size 336
		.amdhsa_user_sgpr_count 15
		.amdhsa_user_sgpr_dispatch_ptr 0
		.amdhsa_user_sgpr_queue_ptr 0
		.amdhsa_user_sgpr_kernarg_segment_ptr 1
		.amdhsa_user_sgpr_dispatch_id 0
		.amdhsa_user_sgpr_private_segment_size 0
		.amdhsa_wavefront_size32 1
		.amdhsa_uses_dynamic_stack 0
		.amdhsa_enable_private_segment 0
		.amdhsa_system_sgpr_workgroup_id_x 1
		.amdhsa_system_sgpr_workgroup_id_y 0
		.amdhsa_system_sgpr_workgroup_id_z 0
		.amdhsa_system_sgpr_workgroup_info 0
		.amdhsa_system_vgpr_workitem_id 0
		.amdhsa_next_free_vgpr 15
		.amdhsa_next_free_sgpr 35
		.amdhsa_reserve_vcc 1
		.amdhsa_float_round_mode_32 0
		.amdhsa_float_round_mode_16_64 0
		.amdhsa_float_denorm_mode_32 3
		.amdhsa_float_denorm_mode_16_64 3
		.amdhsa_dx10_clamp 1
		.amdhsa_ieee_mode 1
		.amdhsa_fp16_overflow 0
		.amdhsa_workgroup_processor_mode 1
		.amdhsa_memory_ordered 1
		.amdhsa_forward_progress 0
		.amdhsa_shared_vgpr_count 0
		.amdhsa_exception_fp_ieee_invalid_op 0
		.amdhsa_exception_fp_denorm_src 0
		.amdhsa_exception_fp_ieee_div_zero 0
		.amdhsa_exception_fp_ieee_overflow 0
		.amdhsa_exception_fp_ieee_underflow 0
		.amdhsa_exception_fp_ieee_inexact 0
		.amdhsa_exception_int_div_zero 0
	.end_amdhsa_kernel
	.section	.text._ZN4vllm15rms_norm_kernelIfLi4ELi4EEEvPT_PKS1_lllllS4_fii,"axG",@progbits,_ZN4vllm15rms_norm_kernelIfLi4ELi4EEEvPT_PKS1_lllllS4_fii,comdat
.Lfunc_end32:
	.size	_ZN4vllm15rms_norm_kernelIfLi4ELi4EEEvPT_PKS1_lllllS4_fii, .Lfunc_end32-_ZN4vllm15rms_norm_kernelIfLi4ELi4EEEvPT_PKS1_lllllS4_fii
                                        ; -- End function
	.section	.AMDGPU.csdata,"",@progbits
; Kernel info:
; codeLenInByte = 3552
; NumSgprs: 37
; NumVgprs: 15
; ScratchSize: 0
; MemoryBound: 0
; FloatMode: 240
; IeeeMode: 1
; LDSByteSize: 132 bytes/workgroup (compile time only)
; SGPRBlocks: 4
; VGPRBlocks: 1
; NumSGPRsForWavesPerEU: 37
; NumVGPRsForWavesPerEU: 15
; Occupancy: 16
; WaveLimiterHint : 0
; COMPUTE_PGM_RSRC2:SCRATCH_EN: 0
; COMPUTE_PGM_RSRC2:USER_SGPR: 15
; COMPUTE_PGM_RSRC2:TRAP_HANDLER: 0
; COMPUTE_PGM_RSRC2:TGID_X_EN: 1
; COMPUTE_PGM_RSRC2:TGID_Y_EN: 0
; COMPUTE_PGM_RSRC2:TGID_Z_EN: 0
; COMPUTE_PGM_RSRC2:TIDIG_COMP_CNT: 0
	.section	.text._ZN4vllm15rms_norm_kernelIfLi2ELi4EEEvPT_PKS1_lllllS4_fii,"axG",@progbits,_ZN4vllm15rms_norm_kernelIfLi2ELi4EEEvPT_PKS1_lllllS4_fii,comdat
	.protected	_ZN4vllm15rms_norm_kernelIfLi2ELi4EEEvPT_PKS1_lllllS4_fii ; -- Begin function _ZN4vllm15rms_norm_kernelIfLi2ELi4EEEvPT_PKS1_lllllS4_fii
	.globl	_ZN4vllm15rms_norm_kernelIfLi2ELi4EEEvPT_PKS1_lllllS4_fii
	.p2align	8
	.type	_ZN4vllm15rms_norm_kernelIfLi2ELi4EEEvPT_PKS1_lllllS4_fii,@function
_ZN4vllm15rms_norm_kernelIfLi2ELi4EEEvPT_PKS1_lllllS4_fii: ; @_ZN4vllm15rms_norm_kernelIfLi2ELi4EEEvPT_PKS1_lllllS4_fii
; %bb.0:
	s_clause 0x1
	s_load_b256 s[4:11], s[0:1], 0x10
	s_load_b64 s[2:3], s[0:1], 0x30
	s_waitcnt lgkmcnt(0)
	s_mul_i32 s12, s2, s11
	s_mul_hi_u32 s13, s2, s10
	s_mul_i32 s3, s3, s10
	s_add_i32 s13, s13, s12
	s_mov_b32 s12, 0
	s_add_i32 s13, s13, s3
	s_mul_i32 s14, s2, s10
	s_cmp_lg_u64 s[12:13], 0
	s_cbranch_scc0 .LBB33_35
; %bb.1:
	s_ashr_i32 s16, s13, 31
	s_delay_alu instid0(SALU_CYCLE_1) | instskip(SKIP_2) | instid1(SALU_CYCLE_1)
	s_add_u32 s2, s14, s16
	s_mov_b32 s17, s16
	s_addc_u32 s3, s13, s16
	s_xor_b64 s[2:3], s[2:3], s[16:17]
	s_delay_alu instid0(SALU_CYCLE_1) | instskip(SKIP_3) | instid1(VALU_DEP_1)
	v_cvt_f32_u32_e32 v1, s2
	v_cvt_f32_u32_e32 v2, s3
	s_sub_u32 s19, 0, s2
	s_subb_u32 s20, 0, s3
	v_fmamk_f32 v1, v2, 0x4f800000, v1
	s_delay_alu instid0(VALU_DEP_1) | instskip(SKIP_2) | instid1(VALU_DEP_1)
	v_rcp_f32_e32 v1, v1
	s_waitcnt_depctr 0xfff
	v_mul_f32_e32 v1, 0x5f7ffffc, v1
	v_mul_f32_e32 v2, 0x2f800000, v1
	s_delay_alu instid0(VALU_DEP_1) | instskip(NEXT) | instid1(VALU_DEP_1)
	v_trunc_f32_e32 v2, v2
	v_fmamk_f32 v1, v2, 0xcf800000, v1
	v_cvt_u32_f32_e32 v2, v2
	s_delay_alu instid0(VALU_DEP_2) | instskip(NEXT) | instid1(VALU_DEP_2)
	v_cvt_u32_f32_e32 v1, v1
	v_readfirstlane_b32 s13, v2
	s_delay_alu instid0(VALU_DEP_2) | instskip(NEXT) | instid1(VALU_DEP_2)
	v_readfirstlane_b32 s18, v1
	s_mul_i32 s21, s19, s13
	s_delay_alu instid0(VALU_DEP_1)
	s_mul_hi_u32 s23, s19, s18
	s_mul_i32 s22, s20, s18
	s_add_i32 s21, s23, s21
	s_mul_i32 s24, s19, s18
	s_add_i32 s21, s21, s22
	s_mul_hi_u32 s23, s18, s24
	s_mul_hi_u32 s25, s13, s24
	s_mul_i32 s22, s13, s24
	s_mul_hi_u32 s24, s18, s21
	s_mul_i32 s18, s18, s21
	s_mul_hi_u32 s26, s13, s21
	s_add_u32 s18, s23, s18
	s_addc_u32 s23, 0, s24
	s_add_u32 s18, s18, s22
	s_mul_i32 s21, s13, s21
	s_addc_u32 s18, s23, s25
	s_addc_u32 s22, s26, 0
	s_add_u32 s18, s18, s21
	s_addc_u32 s21, 0, s22
	v_add_co_u32 v1, s18, v1, s18
	s_delay_alu instid0(VALU_DEP_1) | instskip(SKIP_1) | instid1(VALU_DEP_1)
	s_cmp_lg_u32 s18, 0
	s_addc_u32 s13, s13, s21
	v_readfirstlane_b32 s18, v1
	s_mul_i32 s21, s19, s13
	s_delay_alu instid0(VALU_DEP_1)
	s_mul_hi_u32 s22, s19, s18
	s_mul_i32 s20, s20, s18
	s_add_i32 s21, s22, s21
	s_mul_i32 s19, s19, s18
	s_add_i32 s21, s21, s20
	s_mul_hi_u32 s22, s13, s19
	s_mul_i32 s23, s13, s19
	s_mul_hi_u32 s19, s18, s19
	s_mul_hi_u32 s24, s18, s21
	s_mul_i32 s18, s18, s21
	s_mul_hi_u32 s20, s13, s21
	s_add_u32 s18, s19, s18
	s_addc_u32 s19, 0, s24
	s_add_u32 s18, s18, s23
	s_mul_i32 s21, s13, s21
	s_addc_u32 s18, s19, s22
	s_addc_u32 s19, s20, 0
	s_add_u32 s18, s18, s21
	s_addc_u32 s19, 0, s19
	v_add_co_u32 v1, s18, v1, s18
	s_delay_alu instid0(VALU_DEP_1) | instskip(SKIP_1) | instid1(VALU_DEP_1)
	s_cmp_lg_u32 s18, 0
	s_addc_u32 s13, s13, s19
	v_readfirstlane_b32 s18, v1
	s_mul_i32 s19, s15, s13
	s_mul_hi_u32 s13, s15, s13
	s_delay_alu instid0(VALU_DEP_1) | instskip(NEXT) | instid1(SALU_CYCLE_1)
	s_mul_hi_u32 s18, s15, s18
	s_add_u32 s18, s18, s19
	s_addc_u32 s13, 0, s13
	s_add_u32 s18, s18, 0
	s_addc_u32 s13, s13, 0
	s_addc_u32 s18, 0, 0
	s_add_u32 s13, s13, 0
	s_addc_u32 s18, 0, s18
	s_mul_hi_u32 s19, s2, s13
	s_mul_i32 s21, s2, s18
	s_mul_i32 s22, s2, s13
	s_add_i32 s19, s19, s21
	v_sub_co_u32 v1, s21, s15, s22
	s_mul_i32 s20, s3, s13
	s_delay_alu instid0(SALU_CYCLE_1) | instskip(NEXT) | instid1(VALU_DEP_1)
	s_add_i32 s19, s19, s20
	v_sub_co_u32 v2, s22, v1, s2
	s_sub_i32 s20, 0, s19
	s_cmp_lg_u32 s21, 0
	s_subb_u32 s20, s20, s3
	s_cmp_lg_u32 s22, 0
	v_readfirstlane_b32 s22, v2
	s_subb_u32 s20, s20, 0
	s_delay_alu instid0(SALU_CYCLE_1) | instskip(SKIP_1) | instid1(VALU_DEP_1)
	s_cmp_ge_u32 s20, s3
	s_cselect_b32 s23, -1, 0
	s_cmp_ge_u32 s22, s2
	s_cselect_b32 s22, -1, 0
	s_cmp_eq_u32 s20, s3
	s_cselect_b32 s20, s22, s23
	s_add_u32 s22, s13, 1
	s_addc_u32 s23, s18, 0
	s_add_u32 s24, s13, 2
	s_addc_u32 s25, s18, 0
	s_cmp_lg_u32 s20, 0
	s_cselect_b32 s20, s24, s22
	s_cselect_b32 s22, s25, s23
	s_cmp_lg_u32 s21, 0
	v_readfirstlane_b32 s21, v1
	s_subb_u32 s19, 0, s19
	s_delay_alu instid0(SALU_CYCLE_1) | instskip(SKIP_1) | instid1(VALU_DEP_1)
	s_cmp_ge_u32 s19, s3
	s_cselect_b32 s23, -1, 0
	s_cmp_ge_u32 s21, s2
	s_cselect_b32 s2, -1, 0
	s_cmp_eq_u32 s19, s3
	s_cselect_b32 s2, s2, s23
	s_delay_alu instid0(SALU_CYCLE_1) | instskip(SKIP_2) | instid1(SALU_CYCLE_1)
	s_cmp_lg_u32 s2, 0
	s_cselect_b32 s3, s22, s18
	s_cselect_b32 s2, s20, s13
	s_xor_b64 s[2:3], s[2:3], s[16:17]
	s_delay_alu instid0(SALU_CYCLE_1)
	s_sub_u32 s2, s2, s16
	s_subb_u32 s3, s3, s16
	s_and_not1_b32 vcc_lo, exec_lo, s12
	s_cbranch_vccnz .LBB33_3
.LBB33_2:
	v_cvt_f32_u32_e32 v1, s14
	s_sub_i32 s3, 0, s14
	s_delay_alu instid0(VALU_DEP_1) | instskip(SKIP_2) | instid1(VALU_DEP_1)
	v_rcp_iflag_f32_e32 v1, v1
	s_waitcnt_depctr 0xfff
	v_mul_f32_e32 v1, 0x4f7ffffe, v1
	v_cvt_u32_f32_e32 v1, v1
	s_delay_alu instid0(VALU_DEP_1) | instskip(NEXT) | instid1(VALU_DEP_1)
	v_readfirstlane_b32 s2, v1
	s_mul_i32 s3, s3, s2
	s_delay_alu instid0(SALU_CYCLE_1) | instskip(NEXT) | instid1(SALU_CYCLE_1)
	s_mul_hi_u32 s3, s2, s3
	s_add_i32 s2, s2, s3
	s_delay_alu instid0(SALU_CYCLE_1) | instskip(NEXT) | instid1(SALU_CYCLE_1)
	s_mul_hi_u32 s2, s15, s2
	s_mul_i32 s3, s2, s14
	s_add_i32 s12, s2, 1
	s_sub_i32 s3, s15, s3
	s_delay_alu instid0(SALU_CYCLE_1)
	s_sub_i32 s13, s3, s14
	s_cmp_ge_u32 s3, s14
	s_cselect_b32 s2, s12, s2
	s_cselect_b32 s3, s13, s3
	s_add_i32 s12, s2, 1
	s_cmp_ge_u32 s3, s14
	s_mov_b32 s3, 0
	s_cselect_b32 s2, s12, s2
.LBB33_3:
	s_load_b64 s[12:13], s[0:1], 0x8
	s_mul_i32 s14, s2, s14
	s_delay_alu instid0(SALU_CYCLE_1) | instskip(NEXT) | instid1(SALU_CYCLE_1)
	s_sub_i32 s16, s15, s14
	s_ashr_i32 s17, s16, 31
	s_delay_alu instid0(SALU_CYCLE_1) | instskip(SKIP_1) | instid1(SALU_CYCLE_1)
	s_or_b64 s[18:19], s[16:17], s[10:11]
	s_mov_b32 s18, 0
	s_cmp_lg_u64 s[18:19], 0
	s_cbranch_scc0 .LBB33_36
; %bb.4:
	s_ashr_i32 s20, s11, 31
	s_delay_alu instid0(SALU_CYCLE_1) | instskip(SKIP_2) | instid1(SALU_CYCLE_1)
	s_add_u32 s22, s10, s20
	s_mov_b32 s21, s20
	s_addc_u32 s23, s11, s20
	s_xor_b64 s[22:23], s[22:23], s[20:21]
	s_delay_alu instid0(SALU_CYCLE_1) | instskip(SKIP_3) | instid1(VALU_DEP_1)
	v_cvt_f32_u32_e32 v1, s22
	v_cvt_f32_u32_e32 v2, s23
	s_sub_u32 s25, 0, s22
	s_subb_u32 s26, 0, s23
	v_fmamk_f32 v1, v2, 0x4f800000, v1
	s_delay_alu instid0(VALU_DEP_1) | instskip(SKIP_2) | instid1(VALU_DEP_1)
	v_rcp_f32_e32 v1, v1
	s_waitcnt_depctr 0xfff
	v_mul_f32_e32 v1, 0x5f7ffffc, v1
	v_mul_f32_e32 v2, 0x2f800000, v1
	s_delay_alu instid0(VALU_DEP_1) | instskip(NEXT) | instid1(VALU_DEP_1)
	v_trunc_f32_e32 v2, v2
	v_fmamk_f32 v1, v2, 0xcf800000, v1
	v_cvt_u32_f32_e32 v2, v2
	s_delay_alu instid0(VALU_DEP_2) | instskip(NEXT) | instid1(VALU_DEP_2)
	v_cvt_u32_f32_e32 v1, v1
	v_readfirstlane_b32 s14, v2
	s_delay_alu instid0(VALU_DEP_2) | instskip(NEXT) | instid1(VALU_DEP_2)
	v_readfirstlane_b32 s19, v1
	s_mul_i32 s24, s25, s14
	s_delay_alu instid0(VALU_DEP_1)
	s_mul_hi_u32 s28, s25, s19
	s_mul_i32 s27, s26, s19
	s_add_i32 s24, s28, s24
	s_mul_i32 s29, s25, s19
	s_add_i32 s24, s24, s27
	s_mul_hi_u32 s28, s19, s29
	s_mul_hi_u32 s30, s14, s29
	s_mul_i32 s27, s14, s29
	s_mul_hi_u32 s29, s19, s24
	s_mul_i32 s19, s19, s24
	s_mul_hi_u32 s31, s14, s24
	s_add_u32 s19, s28, s19
	s_addc_u32 s28, 0, s29
	s_add_u32 s19, s19, s27
	s_mul_i32 s24, s14, s24
	s_addc_u32 s19, s28, s30
	s_addc_u32 s27, s31, 0
	s_add_u32 s19, s19, s24
	s_addc_u32 s24, 0, s27
	v_add_co_u32 v1, s19, v1, s19
	s_delay_alu instid0(VALU_DEP_1) | instskip(SKIP_1) | instid1(VALU_DEP_1)
	s_cmp_lg_u32 s19, 0
	s_addc_u32 s14, s14, s24
	v_readfirstlane_b32 s19, v1
	s_mul_i32 s27, s25, s14
	s_mov_b32 s24, s17
	s_delay_alu instid0(VALU_DEP_1)
	s_mul_hi_u32 s28, s25, s19
	s_mul_i32 s26, s26, s19
	s_add_i32 s27, s28, s27
	s_mul_i32 s25, s25, s19
	s_add_i32 s27, s27, s26
	s_mul_hi_u32 s28, s14, s25
	s_mul_i32 s29, s14, s25
	s_mul_hi_u32 s25, s19, s25
	s_mul_hi_u32 s30, s19, s27
	s_mul_i32 s19, s19, s27
	s_mul_hi_u32 s26, s14, s27
	s_add_u32 s19, s25, s19
	s_addc_u32 s25, 0, s30
	s_add_u32 s19, s19, s29
	s_mul_i32 s27, s14, s27
	s_addc_u32 s19, s25, s28
	s_addc_u32 s25, s26, 0
	s_add_u32 s19, s19, s27
	s_addc_u32 s26, 0, s25
	v_add_co_u32 v1, s19, v1, s19
	s_delay_alu instid0(VALU_DEP_1)
	s_cmp_lg_u32 s19, 0
	s_mov_b32 s25, s17
	s_addc_u32 s14, s14, s26
	s_add_u32 s26, s16, s17
	v_readfirstlane_b32 s19, v1
	s_addc_u32 s27, s17, s17
	s_delay_alu instid0(SALU_CYCLE_1) | instskip(NEXT) | instid1(SALU_CYCLE_1)
	s_xor_b64 s[26:27], s[26:27], s[24:25]
	s_mul_i32 s29, s26, s14
	s_delay_alu instid0(VALU_DEP_1)
	s_mul_hi_u32 s30, s26, s19
	s_mul_hi_u32 s28, s26, s14
	;; [unrolled: 1-line block ×3, first 2 shown]
	s_mul_i32 s19, s27, s19
	s_add_u32 s29, s30, s29
	s_addc_u32 s28, 0, s28
	s_mul_hi_u32 s31, s27, s14
	s_add_u32 s19, s29, s19
	s_mul_i32 s14, s27, s14
	s_addc_u32 s19, s28, s33
	s_addc_u32 s28, s31, 0
	s_add_u32 s14, s19, s14
	s_addc_u32 s19, 0, s28
	s_mul_i32 s31, s22, s14
	s_mul_hi_u32 s28, s22, s14
	s_mul_i32 s30, s22, s19
	v_sub_co_u32 v1, s26, s26, s31
	s_mul_i32 s29, s23, s14
	s_add_i32 s28, s28, s30
	s_delay_alu instid0(SALU_CYCLE_1) | instskip(NEXT) | instid1(VALU_DEP_1)
	s_add_i32 s28, s28, s29
	v_sub_co_u32 v2, s30, v1, s22
	s_sub_i32 s29, s27, s28
	s_cmp_lg_u32 s26, 0
	s_subb_u32 s29, s29, s23
	s_cmp_lg_u32 s30, 0
	v_readfirstlane_b32 s30, v2
	s_subb_u32 s29, s29, 0
	s_delay_alu instid0(SALU_CYCLE_1) | instskip(SKIP_1) | instid1(VALU_DEP_1)
	s_cmp_ge_u32 s29, s23
	s_cselect_b32 s31, -1, 0
	s_cmp_ge_u32 s30, s22
	s_cselect_b32 s30, -1, 0
	s_cmp_eq_u32 s29, s23
	s_cselect_b32 s29, s30, s31
	s_add_u32 s30, s14, 1
	s_addc_u32 s31, s19, 0
	s_add_u32 s33, s14, 2
	s_addc_u32 s34, s19, 0
	s_cmp_lg_u32 s29, 0
	s_cselect_b32 s29, s33, s30
	s_cselect_b32 s30, s34, s31
	s_cmp_lg_u32 s26, 0
	v_readfirstlane_b32 s26, v1
	s_subb_u32 s27, s27, s28
	s_delay_alu instid0(SALU_CYCLE_1) | instskip(SKIP_1) | instid1(VALU_DEP_1)
	s_cmp_ge_u32 s27, s23
	s_cselect_b32 s28, -1, 0
	s_cmp_ge_u32 s26, s22
	s_cselect_b32 s22, -1, 0
	s_cmp_eq_u32 s27, s23
	s_cselect_b32 s22, s22, s28
	s_delay_alu instid0(SALU_CYCLE_1) | instskip(SKIP_3) | instid1(SALU_CYCLE_1)
	s_cmp_lg_u32 s22, 0
	s_cselect_b32 s23, s30, s19
	s_cselect_b32 s22, s29, s14
	s_xor_b64 s[20:21], s[24:25], s[20:21]
	s_xor_b64 s[22:23], s[22:23], s[20:21]
	s_delay_alu instid0(SALU_CYCLE_1)
	s_sub_u32 s20, s22, s20
	s_subb_u32 s21, s23, s21
	s_and_not1_b32 vcc_lo, exec_lo, s18
	s_cbranch_vccnz .LBB33_6
.LBB33_5:
	v_cvt_f32_u32_e32 v1, s10
	s_sub_i32 s18, 0, s10
	s_mov_b32 s21, 0
	s_delay_alu instid0(VALU_DEP_1) | instskip(SKIP_2) | instid1(VALU_DEP_1)
	v_rcp_iflag_f32_e32 v1, v1
	s_waitcnt_depctr 0xfff
	v_mul_f32_e32 v1, 0x4f7ffffe, v1
	v_cvt_u32_f32_e32 v1, v1
	s_delay_alu instid0(VALU_DEP_1) | instskip(NEXT) | instid1(VALU_DEP_1)
	v_readfirstlane_b32 s14, v1
	s_mul_i32 s18, s18, s14
	s_delay_alu instid0(SALU_CYCLE_1) | instskip(NEXT) | instid1(SALU_CYCLE_1)
	s_mul_hi_u32 s18, s14, s18
	s_add_i32 s14, s14, s18
	s_delay_alu instid0(SALU_CYCLE_1) | instskip(NEXT) | instid1(SALU_CYCLE_1)
	s_mul_hi_u32 s14, s16, s14
	s_mul_i32 s18, s14, s10
	s_add_i32 s19, s14, 1
	s_sub_i32 s18, s16, s18
	s_delay_alu instid0(SALU_CYCLE_1)
	s_sub_i32 s20, s18, s10
	s_cmp_ge_u32 s18, s10
	s_cselect_b32 s14, s19, s14
	s_cselect_b32 s18, s20, s18
	s_add_i32 s19, s14, 1
	s_cmp_ge_u32 s18, s10
	s_cselect_b32 s20, s19, s14
.LBB33_6:
	s_delay_alu instid0(SALU_CYCLE_1)
	s_mul_i32 s11, s20, s11
	s_mul_hi_u32 s14, s20, s10
	s_mul_i32 s9, s2, s9
	s_add_i32 s11, s14, s11
	s_mul_i32 s14, s21, s10
	s_mul_i32 s10, s20, s10
	s_add_i32 s11, s11, s14
	s_sub_u32 s14, s16, s10
	s_subb_u32 s17, s17, s11
	s_mul_hi_u32 s16, s2, s8
	s_bfe_i64 s[10:11], s[2:3], 0x200000
	s_add_i32 s3, s16, s9
	s_mul_i32 s9, s11, s8
	s_mul_i32 s2, s2, s8
	s_add_i32 s3, s3, s9
	s_load_b32 s18, s[0:1], 0x5c
	s_lshl_b64 s[8:9], s[2:3], 2
	s_mul_i32 s7, s20, s7
	s_waitcnt lgkmcnt(0)
	s_add_u32 s10, s12, s8
	s_mul_hi_u32 s16, s20, s6
	s_addc_u32 s11, s13, s9
	s_bfe_i64 s[2:3], s[20:21], 0x200000
	s_add_i32 s2, s16, s7
	s_load_b32 s16, s[0:1], 0x48
	s_mul_i32 s3, s3, s6
	s_mul_i32 s17, s17, s4
	s_add_i32 s3, s2, s3
	s_mul_i32 s2, s20, s6
	s_delay_alu instid0(SALU_CYCLE_1)
	s_lshl_b64 s[6:7], s[2:3], 2
	s_mul_i32 s2, s14, s5
	s_mul_hi_u32 s3, s14, s4
	s_add_u32 s10, s10, s6
	s_addc_u32 s11, s11, s7
	s_add_i32 s2, s3, s2
	s_delay_alu instid0(SALU_CYCLE_1) | instskip(SKIP_1) | instid1(SALU_CYCLE_1)
	s_add_i32 s3, s2, s17
	s_mul_i32 s2, s14, s4
	s_lshl_b64 s[4:5], s[2:3], 2
	s_delay_alu instid0(SALU_CYCLE_1)
	s_add_u32 s2, s10, s4
	s_addc_u32 s3, s11, s5
	s_and_b32 s10, s2, 7
	s_mov_b32 s11, 0
	s_and_b32 s14, s18, 0xffff
	s_cmp_lg_u64 s[10:11], 0
	s_cselect_b32 s10, -1, 0
	s_waitcnt lgkmcnt(0)
	s_bitcmp1_b32 s16, 0
	s_cselect_b32 s11, -1, 0
	s_delay_alu instid0(SALU_CYCLE_1) | instskip(NEXT) | instid1(SALU_CYCLE_1)
	s_or_b32 s10, s11, s10
	s_and_b32 vcc_lo, exec_lo, s10
	s_cbranch_vccz .LBB33_19
; %bb.7:
	s_sub_i32 s10, 0, s2
	v_mov_b32_e32 v4, 0
	s_bfe_u32 s10, s10, 0x10002
	s_mov_b32 s11, exec_lo
	s_min_i32 s10, s10, s16
	s_delay_alu instid0(SALU_CYCLE_1)
	v_cmpx_gt_i32_e64 s10, v0
	s_cbranch_execz .LBB33_10
; %bb.8:
	v_mov_b32_e32 v4, 0
	s_lshl_b32 s17, s14, 2
	s_mov_b32 s18, 0
.LBB33_9:                               ; =>This Inner Loop Header: Depth=1
	s_load_b32 s19, s[2:3], 0x0
	s_add_i32 s18, s18, s14
	s_add_u32 s2, s2, s17
	s_addc_u32 s3, s3, 0
	s_cmp_ge_i32 s18, s10
	s_waitcnt lgkmcnt(0)
	v_fmac_f32_e64 v4, s19, s19
	s_cbranch_scc0 .LBB33_9
.LBB33_10:
	s_or_b32 exec_lo, exec_lo, s11
	s_sub_i32 s3, s16, s10
	s_ashr_i32 s11, s10, 31
	s_lshr_b32 s2, s3, 31
	s_mov_b32 s18, exec_lo
	s_add_i32 s2, s3, s2
	s_delay_alu instid0(SALU_CYCLE_1) | instskip(NEXT) | instid1(SALU_CYCLE_1)
	s_ashr_i32 s17, s2, 1
	v_cmpx_gt_i32_e64 s17, v0
	s_cbranch_execz .LBB33_14
; %bb.11:
	s_add_u32 s2, s4, s8
	s_addc_u32 s19, s5, s9
	s_add_u32 s2, s2, s6
	s_addc_u32 s19, s19, s7
	s_lshl_b64 s[20:21], s[10:11], 2
	v_lshlrev_b32_e32 v1, 3, v0
	s_add_u32 s20, s12, s20
	s_addc_u32 s21, s13, s21
	s_add_u32 s2, s20, s2
	s_addc_u32 s19, s21, s19
	v_add_co_u32 v1, s2, s2, v1
	s_delay_alu instid0(VALU_DEP_1) | instskip(SKIP_1) | instid1(VALU_DEP_3)
	v_add_co_ci_u32_e64 v2, null, s19, 0, s2
	v_mov_b32_e32 v3, v0
	v_add_co_u32 v1, vcc_lo, v1, 4
	s_delay_alu instid0(VALU_DEP_3)
	v_add_co_ci_u32_e32 v2, vcc_lo, 0, v2, vcc_lo
	s_mov_b32 s19, 0
	s_lshl_b32 s20, s14, 3
.LBB33_12:                              ; =>This Inner Loop Header: Depth=1
	global_load_b64 v[5:6], v[1:2], off offset:-4
	v_add_nc_u32_e32 v3, s14, v3
	v_add_co_u32 v1, vcc_lo, v1, s20
	v_add_co_ci_u32_e32 v2, vcc_lo, 0, v2, vcc_lo
	s_waitcnt vmcnt(0)
	v_fmac_f32_e32 v4, v5, v5
	v_cmp_le_i32_e64 s2, s17, v3
	s_delay_alu instid0(VALU_DEP_2) | instskip(NEXT) | instid1(VALU_DEP_2)
	v_fmac_f32_e32 v4, v6, v6
	s_or_b32 s19, s2, s19
	s_delay_alu instid0(SALU_CYCLE_1)
	s_and_not1_b32 exec_lo, exec_lo, s19
	s_cbranch_execnz .LBB33_12
; %bb.13:
	s_or_b32 exec_lo, exec_lo, s19
.LBB33_14:
	s_delay_alu instid0(SALU_CYCLE_1) | instskip(SKIP_2) | instid1(VALU_DEP_1)
	s_or_b32 exec_lo, exec_lo, s18
	v_lshl_add_u32 v1, s17, 1, v0
	s_mov_b32 s17, exec_lo
	v_cmpx_gt_i32_e64 s3, v1
	s_cbranch_execz .LBB33_18
; %bb.15:
	v_ashrrev_i32_e32 v2, 31, v1
	s_add_u32 s2, s4, s8
	s_addc_u32 s18, s5, s9
	s_add_u32 s2, s2, s6
	s_addc_u32 s18, s18, s7
	s_lshl_b64 s[10:11], s[10:11], 2
	v_lshlrev_b64 v[2:3], 2, v[1:2]
	s_add_u32 s2, s2, s10
	s_addc_u32 s10, s18, s11
	s_add_u32 s2, s12, s2
	s_addc_u32 s10, s13, s10
	s_lshl_b32 s11, s14, 2
	v_add_co_u32 v2, vcc_lo, s2, v2
	v_add_co_ci_u32_e32 v3, vcc_lo, s10, v3, vcc_lo
	s_mov_b32 s10, 0
.LBB33_16:                              ; =>This Inner Loop Header: Depth=1
	global_load_b32 v5, v[2:3], off
	v_add_nc_u32_e32 v1, s14, v1
	v_add_co_u32 v2, vcc_lo, v2, s11
	v_add_co_ci_u32_e32 v3, vcc_lo, 0, v3, vcc_lo
	s_delay_alu instid0(VALU_DEP_3) | instskip(NEXT) | instid1(VALU_DEP_1)
	v_cmp_le_i32_e64 s2, s3, v1
	s_or_b32 s10, s2, s10
	s_waitcnt vmcnt(0)
	v_fmac_f32_e32 v4, v5, v5
	s_and_not1_b32 exec_lo, exec_lo, s10
	s_cbranch_execnz .LBB33_16
; %bb.17:
	s_or_b32 exec_lo, exec_lo, s10
.LBB33_18:
	s_delay_alu instid0(SALU_CYCLE_1)
	s_or_b32 exec_lo, exec_lo, s17
	s_branch .LBB33_25
.LBB33_19:
                                        ; implicit-def: $vgpr4
	s_cbranch_execz .LBB33_25
; %bb.20:
	v_mov_b32_e32 v4, 0
	s_ashr_i32 s10, s16, 1
	s_mov_b32 s3, exec_lo
	v_cmpx_gt_i32_e64 s10, v0
	s_cbranch_execz .LBB33_24
; %bb.21:
	s_add_u32 s2, s4, s8
	s_addc_u32 s11, s5, s9
	v_dual_mov_b32 v4, 0 :: v_dual_lshlrev_b32 v1, 3, v0
	s_add_u32 s2, s2, s6
	s_addc_u32 s11, s11, s7
	s_add_u32 s2, s12, s2
	s_addc_u32 s11, s13, s11
	v_add_co_u32 v1, s2, s2, v1
	s_delay_alu instid0(VALU_DEP_1) | instskip(SKIP_1) | instid1(VALU_DEP_3)
	v_add_co_ci_u32_e64 v2, null, s11, 0, s2
	v_mov_b32_e32 v3, v0
	v_add_co_u32 v1, vcc_lo, v1, 4
	s_delay_alu instid0(VALU_DEP_3)
	v_add_co_ci_u32_e32 v2, vcc_lo, 0, v2, vcc_lo
	s_mov_b32 s11, 0
	s_lshl_b32 s17, s14, 3
.LBB33_22:                              ; =>This Inner Loop Header: Depth=1
	global_load_b64 v[5:6], v[1:2], off offset:-4
	v_add_nc_u32_e32 v3, s14, v3
	v_add_co_u32 v1, vcc_lo, v1, s17
	v_add_co_ci_u32_e32 v2, vcc_lo, 0, v2, vcc_lo
	s_waitcnt vmcnt(0)
	v_fmac_f32_e32 v4, v5, v5
	v_cmp_le_i32_e64 s2, s10, v3
	s_delay_alu instid0(VALU_DEP_2) | instskip(NEXT) | instid1(VALU_DEP_2)
	v_fmac_f32_e32 v4, v6, v6
	s_or_b32 s11, s2, s11
	s_delay_alu instid0(SALU_CYCLE_1)
	s_and_not1_b32 exec_lo, exec_lo, s11
	s_cbranch_execnz .LBB33_22
; %bb.23:
	s_or_b32 exec_lo, exec_lo, s11
.LBB33_24:
	s_delay_alu instid0(SALU_CYCLE_1)
	s_or_b32 exec_lo, exec_lo, s3
.LBB33_25:
	v_mbcnt_lo_u32_b32 v1, -1, 0
	v_and_b32_e32 v3, 0x3e0, v0
	s_mov_b32 s2, exec_lo
	s_delay_alu instid0(VALU_DEP_2) | instskip(NEXT) | instid1(VALU_DEP_2)
	v_cmp_ne_u32_e32 vcc_lo, 31, v1
	v_sub_nc_u32_e64 v12, s14, v3 clamp
	v_add_nc_u32_e32 v3, 1, v1
	v_add_co_ci_u32_e32 v2, vcc_lo, 0, v1, vcc_lo
	v_cmp_gt_u32_e32 vcc_lo, 30, v1
	s_delay_alu instid0(VALU_DEP_2)
	v_lshlrev_b32_e32 v2, 2, v2
	v_cndmask_b32_e64 v6, 0, 1, vcc_lo
	v_cmp_lt_u32_e32 vcc_lo, v3, v12
	ds_bpermute_b32 v5, v2, v4
	s_waitcnt lgkmcnt(0)
	v_dual_add_f32 v7, v4, v5 :: v_dual_lshlrev_b32 v6, 1, v6
	s_delay_alu instid0(VALU_DEP_1) | instskip(NEXT) | instid1(VALU_DEP_2)
	v_cndmask_b32_e32 v7, v4, v7, vcc_lo
	v_add_lshl_u32 v5, v6, v1, 2
	v_cmp_gt_u32_e32 vcc_lo, 28, v1
	ds_bpermute_b32 v6, v5, v7
	v_cndmask_b32_e64 v4, 0, 1, vcc_lo
	s_delay_alu instid0(VALU_DEP_1) | instskip(SKIP_1) | instid1(VALU_DEP_1)
	v_lshlrev_b32_e32 v8, 2, v4
	v_add_nc_u32_e32 v4, 2, v1
	v_cmp_lt_u32_e32 vcc_lo, v4, v12
	s_waitcnt lgkmcnt(0)
	v_add_f32_e32 v9, v7, v6
	v_add_lshl_u32 v6, v8, v1, 2
	s_delay_alu instid0(VALU_DEP_2) | instskip(SKIP_2) | instid1(VALU_DEP_1)
	v_cndmask_b32_e32 v9, v7, v9, vcc_lo
	v_cmp_gt_u32_e32 vcc_lo, 24, v1
	v_cndmask_b32_e64 v7, 0, 1, vcc_lo
	v_lshlrev_b32_e32 v10, 3, v7
	ds_bpermute_b32 v8, v6, v9
	v_add_nc_u32_e32 v7, 4, v1
	s_delay_alu instid0(VALU_DEP_1) | instskip(SKIP_3) | instid1(VALU_DEP_2)
	v_cmp_lt_u32_e32 vcc_lo, v7, v12
	s_waitcnt lgkmcnt(0)
	v_add_f32_e32 v11, v9, v8
	v_add_lshl_u32 v8, v10, v1, 2
	v_cndmask_b32_e32 v11, v9, v11, vcc_lo
	v_cmp_gt_u32_e32 vcc_lo, 16, v1
	ds_bpermute_b32 v10, v8, v11
	v_cndmask_b32_e64 v9, 0, 1, vcc_lo
	s_delay_alu instid0(VALU_DEP_1) | instskip(SKIP_1) | instid1(VALU_DEP_1)
	v_lshlrev_b32_e32 v13, 4, v9
	v_add_nc_u32_e32 v9, 8, v1
	v_cmp_lt_u32_e32 vcc_lo, v9, v12
	s_waitcnt lgkmcnt(0)
	v_add_f32_e32 v14, v11, v10
	v_add_lshl_u32 v10, v13, v1, 2
	s_delay_alu instid0(VALU_DEP_2)
	v_cndmask_b32_e32 v13, v11, v14, vcc_lo
	v_add_nc_u32_e32 v11, 16, v1
	ds_bpermute_b32 v14, v10, v13
	v_cmp_lt_u32_e32 vcc_lo, v11, v12
	s_waitcnt lgkmcnt(0)
	v_add_f32_e32 v14, v13, v14
	s_delay_alu instid0(VALU_DEP_1)
	v_cndmask_b32_e32 v12, v13, v14, vcc_lo
	v_cmpx_eq_u32_e32 0, v1
	s_cbranch_execz .LBB33_27
; %bb.26:
	v_lshrrev_b32_e32 v13, 3, v0
	s_delay_alu instid0(VALU_DEP_1)
	v_and_b32_e32 v13, 0x7c, v13
	ds_store_b32 v13, v12
.LBB33_27:
	s_or_b32 exec_lo, exec_lo, s2
	s_delay_alu instid0(SALU_CYCLE_1)
	s_mov_b32 s2, exec_lo
	s_waitcnt lgkmcnt(0)
	s_barrier
	buffer_gl0_inv
	v_cmpx_gt_u32_e32 32, v0
	s_cbranch_execz .LBB33_29
; %bb.28:
	v_lshlrev_b32_e32 v1, 2, v1
	s_add_i32 s3, s14, 31
	s_delay_alu instid0(SALU_CYCLE_1) | instskip(NEXT) | instid1(SALU_CYCLE_1)
	s_lshr_b32 s3, s3, 5
	v_cmp_gt_u32_e32 vcc_lo, s3, v3
	ds_load_b32 v1, v1
	s_waitcnt lgkmcnt(0)
	ds_bpermute_b32 v2, v2, v1
	s_waitcnt lgkmcnt(0)
	v_add_f32_e32 v2, v1, v2
	s_delay_alu instid0(VALU_DEP_1) | instskip(SKIP_4) | instid1(VALU_DEP_1)
	v_cndmask_b32_e32 v1, v1, v2, vcc_lo
	v_cmp_gt_u32_e32 vcc_lo, s3, v4
	ds_bpermute_b32 v2, v5, v1
	s_waitcnt lgkmcnt(0)
	v_add_f32_e32 v2, v1, v2
	v_cndmask_b32_e32 v1, v1, v2, vcc_lo
	v_cmp_gt_u32_e32 vcc_lo, s3, v7
	ds_bpermute_b32 v2, v6, v1
	s_waitcnt lgkmcnt(0)
	v_add_f32_e32 v2, v1, v2
	s_delay_alu instid0(VALU_DEP_1) | instskip(SKIP_4) | instid1(VALU_DEP_1)
	v_cndmask_b32_e32 v1, v1, v2, vcc_lo
	v_cmp_gt_u32_e32 vcc_lo, s3, v9
	ds_bpermute_b32 v2, v8, v1
	s_waitcnt lgkmcnt(0)
	v_add_f32_e32 v2, v1, v2
	v_cndmask_b32_e32 v1, v1, v2, vcc_lo
	v_cmp_gt_u32_e32 vcc_lo, s3, v11
	ds_bpermute_b32 v2, v10, v1
	s_waitcnt lgkmcnt(0)
	v_add_f32_e32 v2, v1, v2
	s_delay_alu instid0(VALU_DEP_1)
	v_cndmask_b32_e32 v12, v1, v2, vcc_lo
.LBB33_29:
	s_or_b32 exec_lo, exec_lo, s2
	s_delay_alu instid0(SALU_CYCLE_1)
	s_mov_b32 s2, exec_lo
	v_cmpx_eq_u32_e32 0, v0
	s_cbranch_execz .LBB33_31
; %bb.30:
	v_cvt_f32_i32_e32 v1, s16
	s_load_b32 s3, s[0:1], 0x40
	s_delay_alu instid0(VALU_DEP_1) | instskip(SKIP_1) | instid1(VALU_DEP_2)
	v_div_scale_f32 v2, null, v1, v1, v12
	v_div_scale_f32 v5, vcc_lo, v12, v1, v12
	v_rcp_f32_e32 v3, v2
	s_waitcnt_depctr 0xfff
	v_fma_f32 v4, -v2, v3, 1.0
	s_delay_alu instid0(VALU_DEP_1) | instskip(NEXT) | instid1(VALU_DEP_1)
	v_fmac_f32_e32 v3, v4, v3
	v_mul_f32_e32 v4, v5, v3
	s_delay_alu instid0(VALU_DEP_1) | instskip(NEXT) | instid1(VALU_DEP_1)
	v_fma_f32 v6, -v2, v4, v5
	v_fmac_f32_e32 v4, v6, v3
	s_delay_alu instid0(VALU_DEP_1) | instskip(NEXT) | instid1(VALU_DEP_1)
	v_fma_f32 v2, -v2, v4, v5
	v_div_fmas_f32 v2, v2, v3, v4
	s_delay_alu instid0(VALU_DEP_1) | instskip(SKIP_1) | instid1(VALU_DEP_1)
	v_div_fixup_f32 v1, v2, v1, v12
	s_waitcnt lgkmcnt(0)
	v_add_f32_e32 v1, s3, v1
	s_delay_alu instid0(VALU_DEP_1) | instskip(SKIP_1) | instid1(VALU_DEP_2)
	v_mul_f32_e32 v2, 0x4b800000, v1
	v_cmp_gt_f32_e32 vcc_lo, 0x800000, v1
	v_cndmask_b32_e32 v1, v1, v2, vcc_lo
	s_delay_alu instid0(VALU_DEP_1) | instskip(SKIP_2) | instid1(VALU_DEP_1)
	v_rsq_f32_e32 v1, v1
	s_waitcnt_depctr 0xfff
	v_mul_f32_e32 v2, 0x45800000, v1
	v_dual_cndmask_b32 v1, v1, v2 :: v_dual_mov_b32 v2, 0
	ds_store_b32 v2, v1 offset:128
.LBB33_31:
	s_or_b32 exec_lo, exec_lo, s2
	s_lshr_b32 s2, s16, 31
	s_waitcnt lgkmcnt(0)
	s_add_i32 s2, s16, s2
	s_barrier
	s_ashr_i32 s10, s2, 1
	buffer_gl0_inv
	s_mov_b32 s2, exec_lo
	v_cmpx_gt_i32_e64 s10, v0
	s_cbranch_execz .LBB33_34
; %bb.32:
	s_clause 0x1
	s_load_b64 s[2:3], s[0:1], 0x0
	s_load_b64 s[18:19], s[0:1], 0x38
	v_dual_mov_b32 v1, 0 :: v_dual_lshlrev_b32 v2, 3, v0
	s_mul_i32 s0, s15, s16
	s_mov_b32 s1, 0
	s_delay_alu instid0(SALU_CYCLE_1) | instskip(SKIP_4) | instid1(VALU_DEP_1)
	s_lshl_b64 s[16:17], s[0:1], 2
	ds_load_b32 v1, v1 offset:128
	s_waitcnt lgkmcnt(0)
	s_add_u32 s2, s2, s16
	v_add_co_u32 v6, s0, v2, s18
	v_add_co_ci_u32_e64 v7, null, 0, s19, s0
	s_addc_u32 s3, s3, s17
	s_lshl_b32 s0, s14, 3
	s_add_u32 s4, s4, s8
	s_addc_u32 s5, s5, s9
	s_add_u32 s4, s4, s6
	s_addc_u32 s5, s5, s7
	;; [unrolled: 2-line block ×3, first 2 shown]
	v_add_co_u32 v4, s4, s4, v2
	s_delay_alu instid0(VALU_DEP_1) | instskip(SKIP_1) | instid1(VALU_DEP_3)
	v_add_co_ci_u32_e64 v5, null, s5, 0, s4
	v_add_co_u32 v2, s2, s2, v2
	v_add_co_u32 v4, vcc_lo, v4, 4
	s_delay_alu instid0(VALU_DEP_3)
	v_add_co_ci_u32_e32 v5, vcc_lo, 0, v5, vcc_lo
	v_add_co_u32 v6, vcc_lo, v6, 4
	v_add_co_ci_u32_e64 v3, null, s3, 0, s2
	v_add_co_ci_u32_e32 v7, vcc_lo, 0, v7, vcc_lo
	s_mov_b64 s[2:3], 0
	.p2align	6
.LBB33_33:                              ; =>This Inner Loop Header: Depth=1
	s_delay_alu instid0(SALU_CYCLE_1)
	v_add_co_u32 v8, vcc_lo, v4, s2
	v_add_co_ci_u32_e32 v9, vcc_lo, s3, v5, vcc_lo
	v_add_co_u32 v10, vcc_lo, v6, s2
	v_add_co_ci_u32_e32 v11, vcc_lo, s3, v7, vcc_lo
	v_add_co_u32 v12, vcc_lo, v2, s2
	global_load_b64 v[8:9], v[8:9], off offset:-4
	global_load_b64 v[10:11], v[10:11], off offset:-4
	v_add_nc_u32_e32 v0, s14, v0
	v_add_co_ci_u32_e32 v13, vcc_lo, s3, v3, vcc_lo
	s_add_u32 s2, s2, s0
	s_addc_u32 s3, s3, 0
	s_waitcnt vmcnt(1)
	v_mul_f32_e32 v9, v9, v1
	v_mul_f32_e32 v8, v8, v1
	v_cmp_le_i32_e32 vcc_lo, s10, v0
	s_waitcnt vmcnt(0)
	s_delay_alu instid0(VALU_DEP_2)
	v_dual_mul_f32 v9, v9, v11 :: v_dual_mul_f32 v8, v8, v10
	s_or_b32 s1, vcc_lo, s1
	global_store_b64 v[12:13], v[8:9], off
	s_and_not1_b32 exec_lo, exec_lo, s1
	s_cbranch_execnz .LBB33_33
.LBB33_34:
	s_nop 0
	s_sendmsg sendmsg(MSG_DEALLOC_VGPRS)
	s_endpgm
.LBB33_35:
                                        ; implicit-def: $sgpr2_sgpr3
	s_branch .LBB33_2
.LBB33_36:
                                        ; implicit-def: $sgpr20_sgpr21
	s_branch .LBB33_5
	.section	.rodata,"a",@progbits
	.p2align	6, 0x0
	.amdhsa_kernel _ZN4vllm15rms_norm_kernelIfLi2ELi4EEEvPT_PKS1_lllllS4_fii
		.amdhsa_group_segment_fixed_size 132
		.amdhsa_private_segment_fixed_size 0
		.amdhsa_kernarg_size 336
		.amdhsa_user_sgpr_count 15
		.amdhsa_user_sgpr_dispatch_ptr 0
		.amdhsa_user_sgpr_queue_ptr 0
		.amdhsa_user_sgpr_kernarg_segment_ptr 1
		.amdhsa_user_sgpr_dispatch_id 0
		.amdhsa_user_sgpr_private_segment_size 0
		.amdhsa_wavefront_size32 1
		.amdhsa_uses_dynamic_stack 0
		.amdhsa_enable_private_segment 0
		.amdhsa_system_sgpr_workgroup_id_x 1
		.amdhsa_system_sgpr_workgroup_id_y 0
		.amdhsa_system_sgpr_workgroup_id_z 0
		.amdhsa_system_sgpr_workgroup_info 0
		.amdhsa_system_vgpr_workitem_id 0
		.amdhsa_next_free_vgpr 15
		.amdhsa_next_free_sgpr 35
		.amdhsa_reserve_vcc 1
		.amdhsa_float_round_mode_32 0
		.amdhsa_float_round_mode_16_64 0
		.amdhsa_float_denorm_mode_32 3
		.amdhsa_float_denorm_mode_16_64 3
		.amdhsa_dx10_clamp 1
		.amdhsa_ieee_mode 1
		.amdhsa_fp16_overflow 0
		.amdhsa_workgroup_processor_mode 1
		.amdhsa_memory_ordered 1
		.amdhsa_forward_progress 0
		.amdhsa_shared_vgpr_count 0
		.amdhsa_exception_fp_ieee_invalid_op 0
		.amdhsa_exception_fp_denorm_src 0
		.amdhsa_exception_fp_ieee_div_zero 0
		.amdhsa_exception_fp_ieee_overflow 0
		.amdhsa_exception_fp_ieee_underflow 0
		.amdhsa_exception_fp_ieee_inexact 0
		.amdhsa_exception_int_div_zero 0
	.end_amdhsa_kernel
	.section	.text._ZN4vllm15rms_norm_kernelIfLi2ELi4EEEvPT_PKS1_lllllS4_fii,"axG",@progbits,_ZN4vllm15rms_norm_kernelIfLi2ELi4EEEvPT_PKS1_lllllS4_fii,comdat
.Lfunc_end33:
	.size	_ZN4vllm15rms_norm_kernelIfLi2ELi4EEEvPT_PKS1_lllllS4_fii, .Lfunc_end33-_ZN4vllm15rms_norm_kernelIfLi2ELi4EEEvPT_PKS1_lllllS4_fii
                                        ; -- End function
	.section	.AMDGPU.csdata,"",@progbits
; Kernel info:
; codeLenInByte = 3532
; NumSgprs: 37
; NumVgprs: 15
; ScratchSize: 0
; MemoryBound: 0
; FloatMode: 240
; IeeeMode: 1
; LDSByteSize: 132 bytes/workgroup (compile time only)
; SGPRBlocks: 4
; VGPRBlocks: 1
; NumSGPRsForWavesPerEU: 37
; NumVGPRsForWavesPerEU: 15
; Occupancy: 16
; WaveLimiterHint : 0
; COMPUTE_PGM_RSRC2:SCRATCH_EN: 0
; COMPUTE_PGM_RSRC2:USER_SGPR: 15
; COMPUTE_PGM_RSRC2:TRAP_HANDLER: 0
; COMPUTE_PGM_RSRC2:TGID_X_EN: 1
; COMPUTE_PGM_RSRC2:TGID_Y_EN: 0
; COMPUTE_PGM_RSRC2:TGID_Z_EN: 0
; COMPUTE_PGM_RSRC2:TIDIG_COMP_CNT: 0
	.section	.text._ZN4vllm15rms_norm_kernelIfLi1ELi4EEEvPT_PKS1_lllllS4_fii,"axG",@progbits,_ZN4vllm15rms_norm_kernelIfLi1ELi4EEEvPT_PKS1_lllllS4_fii,comdat
	.protected	_ZN4vllm15rms_norm_kernelIfLi1ELi4EEEvPT_PKS1_lllllS4_fii ; -- Begin function _ZN4vllm15rms_norm_kernelIfLi1ELi4EEEvPT_PKS1_lllllS4_fii
	.globl	_ZN4vllm15rms_norm_kernelIfLi1ELi4EEEvPT_PKS1_lllllS4_fii
	.p2align	8
	.type	_ZN4vllm15rms_norm_kernelIfLi1ELi4EEEvPT_PKS1_lllllS4_fii,@function
_ZN4vllm15rms_norm_kernelIfLi1ELi4EEEvPT_PKS1_lllllS4_fii: ; @_ZN4vllm15rms_norm_kernelIfLi1ELi4EEEvPT_PKS1_lllllS4_fii
; %bb.0:
	s_clause 0x1
	s_load_b256 s[4:11], s[0:1], 0x10
	s_load_b64 s[2:3], s[0:1], 0x30
	s_waitcnt lgkmcnt(0)
	s_mul_i32 s12, s2, s11
	s_mul_hi_u32 s13, s2, s10
	s_mul_i32 s3, s3, s10
	s_add_i32 s13, s13, s12
	s_mov_b32 s12, 0
	s_add_i32 s13, s13, s3
	s_mul_i32 s14, s2, s10
	s_cmp_lg_u64 s[12:13], 0
	s_cbranch_scc0 .LBB34_12
; %bb.1:
	s_ashr_i32 s16, s13, 31
	s_delay_alu instid0(SALU_CYCLE_1) | instskip(SKIP_2) | instid1(SALU_CYCLE_1)
	s_add_u32 s2, s14, s16
	s_mov_b32 s17, s16
	s_addc_u32 s3, s13, s16
	s_xor_b64 s[2:3], s[2:3], s[16:17]
	s_delay_alu instid0(SALU_CYCLE_1) | instskip(SKIP_3) | instid1(VALU_DEP_1)
	v_cvt_f32_u32_e32 v1, s2
	v_cvt_f32_u32_e32 v2, s3
	s_sub_u32 s19, 0, s2
	s_subb_u32 s20, 0, s3
	v_fmamk_f32 v1, v2, 0x4f800000, v1
	s_delay_alu instid0(VALU_DEP_1) | instskip(SKIP_2) | instid1(VALU_DEP_1)
	v_rcp_f32_e32 v1, v1
	s_waitcnt_depctr 0xfff
	v_mul_f32_e32 v1, 0x5f7ffffc, v1
	v_mul_f32_e32 v2, 0x2f800000, v1
	s_delay_alu instid0(VALU_DEP_1) | instskip(NEXT) | instid1(VALU_DEP_1)
	v_trunc_f32_e32 v2, v2
	v_fmamk_f32 v1, v2, 0xcf800000, v1
	v_cvt_u32_f32_e32 v2, v2
	s_delay_alu instid0(VALU_DEP_2) | instskip(NEXT) | instid1(VALU_DEP_2)
	v_cvt_u32_f32_e32 v1, v1
	v_readfirstlane_b32 s13, v2
	s_delay_alu instid0(VALU_DEP_2) | instskip(NEXT) | instid1(VALU_DEP_2)
	v_readfirstlane_b32 s18, v1
	s_mul_i32 s21, s19, s13
	s_delay_alu instid0(VALU_DEP_1)
	s_mul_hi_u32 s23, s19, s18
	s_mul_i32 s22, s20, s18
	s_add_i32 s21, s23, s21
	s_mul_i32 s24, s19, s18
	s_add_i32 s21, s21, s22
	s_mul_hi_u32 s23, s18, s24
	s_mul_hi_u32 s25, s13, s24
	s_mul_i32 s22, s13, s24
	s_mul_hi_u32 s24, s18, s21
	s_mul_i32 s18, s18, s21
	s_mul_hi_u32 s26, s13, s21
	s_add_u32 s18, s23, s18
	s_addc_u32 s23, 0, s24
	s_add_u32 s18, s18, s22
	s_mul_i32 s21, s13, s21
	s_addc_u32 s18, s23, s25
	s_addc_u32 s22, s26, 0
	s_add_u32 s18, s18, s21
	s_addc_u32 s21, 0, s22
	v_add_co_u32 v1, s18, v1, s18
	s_delay_alu instid0(VALU_DEP_1) | instskip(SKIP_1) | instid1(VALU_DEP_1)
	s_cmp_lg_u32 s18, 0
	s_addc_u32 s13, s13, s21
	v_readfirstlane_b32 s18, v1
	s_mul_i32 s21, s19, s13
	s_delay_alu instid0(VALU_DEP_1)
	s_mul_hi_u32 s22, s19, s18
	s_mul_i32 s20, s20, s18
	s_add_i32 s21, s22, s21
	s_mul_i32 s19, s19, s18
	s_add_i32 s21, s21, s20
	s_mul_hi_u32 s22, s13, s19
	s_mul_i32 s23, s13, s19
	s_mul_hi_u32 s19, s18, s19
	s_mul_hi_u32 s24, s18, s21
	s_mul_i32 s18, s18, s21
	s_mul_hi_u32 s20, s13, s21
	s_add_u32 s18, s19, s18
	s_addc_u32 s19, 0, s24
	s_add_u32 s18, s18, s23
	s_mul_i32 s21, s13, s21
	s_addc_u32 s18, s19, s22
	s_addc_u32 s19, s20, 0
	s_add_u32 s18, s18, s21
	s_addc_u32 s19, 0, s19
	v_add_co_u32 v1, s18, v1, s18
	s_delay_alu instid0(VALU_DEP_1) | instskip(SKIP_1) | instid1(VALU_DEP_1)
	s_cmp_lg_u32 s18, 0
	s_addc_u32 s13, s13, s19
	v_readfirstlane_b32 s18, v1
	s_mul_i32 s19, s15, s13
	s_mul_hi_u32 s13, s15, s13
	s_delay_alu instid0(VALU_DEP_1) | instskip(NEXT) | instid1(SALU_CYCLE_1)
	s_mul_hi_u32 s18, s15, s18
	s_add_u32 s18, s18, s19
	s_addc_u32 s13, 0, s13
	s_add_u32 s18, s18, 0
	s_addc_u32 s13, s13, 0
	s_addc_u32 s18, 0, 0
	s_add_u32 s13, s13, 0
	s_addc_u32 s18, 0, s18
	s_mul_hi_u32 s19, s2, s13
	s_mul_i32 s21, s2, s18
	s_mul_i32 s22, s2, s13
	s_add_i32 s19, s19, s21
	v_sub_co_u32 v1, s21, s15, s22
	s_mul_i32 s20, s3, s13
	s_delay_alu instid0(SALU_CYCLE_1) | instskip(NEXT) | instid1(VALU_DEP_1)
	s_add_i32 s19, s19, s20
	v_sub_co_u32 v2, s22, v1, s2
	s_sub_i32 s20, 0, s19
	s_cmp_lg_u32 s21, 0
	s_subb_u32 s20, s20, s3
	s_cmp_lg_u32 s22, 0
	v_readfirstlane_b32 s22, v2
	s_subb_u32 s20, s20, 0
	s_delay_alu instid0(SALU_CYCLE_1) | instskip(SKIP_1) | instid1(VALU_DEP_1)
	s_cmp_ge_u32 s20, s3
	s_cselect_b32 s23, -1, 0
	s_cmp_ge_u32 s22, s2
	s_cselect_b32 s22, -1, 0
	s_cmp_eq_u32 s20, s3
	s_cselect_b32 s20, s22, s23
	s_add_u32 s22, s13, 1
	s_addc_u32 s23, s18, 0
	s_add_u32 s24, s13, 2
	s_addc_u32 s25, s18, 0
	s_cmp_lg_u32 s20, 0
	s_cselect_b32 s20, s24, s22
	s_cselect_b32 s22, s25, s23
	s_cmp_lg_u32 s21, 0
	v_readfirstlane_b32 s21, v1
	s_subb_u32 s19, 0, s19
	s_delay_alu instid0(SALU_CYCLE_1) | instskip(SKIP_1) | instid1(VALU_DEP_1)
	s_cmp_ge_u32 s19, s3
	s_cselect_b32 s23, -1, 0
	s_cmp_ge_u32 s21, s2
	s_cselect_b32 s2, -1, 0
	s_cmp_eq_u32 s19, s3
	s_cselect_b32 s2, s2, s23
	s_delay_alu instid0(SALU_CYCLE_1) | instskip(SKIP_2) | instid1(SALU_CYCLE_1)
	s_cmp_lg_u32 s2, 0
	s_cselect_b32 s3, s22, s18
	s_cselect_b32 s2, s20, s13
	s_xor_b64 s[2:3], s[2:3], s[16:17]
	s_delay_alu instid0(SALU_CYCLE_1)
	s_sub_u32 s2, s2, s16
	s_subb_u32 s3, s3, s16
	s_and_not1_b32 vcc_lo, exec_lo, s12
	s_cbranch_vccnz .LBB34_3
.LBB34_2:
	v_cvt_f32_u32_e32 v1, s14
	s_sub_i32 s3, 0, s14
	s_delay_alu instid0(VALU_DEP_1) | instskip(SKIP_2) | instid1(VALU_DEP_1)
	v_rcp_iflag_f32_e32 v1, v1
	s_waitcnt_depctr 0xfff
	v_mul_f32_e32 v1, 0x4f7ffffe, v1
	v_cvt_u32_f32_e32 v1, v1
	s_delay_alu instid0(VALU_DEP_1) | instskip(NEXT) | instid1(VALU_DEP_1)
	v_readfirstlane_b32 s2, v1
	s_mul_i32 s3, s3, s2
	s_delay_alu instid0(SALU_CYCLE_1) | instskip(NEXT) | instid1(SALU_CYCLE_1)
	s_mul_hi_u32 s3, s2, s3
	s_add_i32 s2, s2, s3
	s_delay_alu instid0(SALU_CYCLE_1) | instskip(NEXT) | instid1(SALU_CYCLE_1)
	s_mul_hi_u32 s2, s15, s2
	s_mul_i32 s3, s2, s14
	s_add_i32 s12, s2, 1
	s_sub_i32 s3, s15, s3
	s_delay_alu instid0(SALU_CYCLE_1)
	s_sub_i32 s13, s3, s14
	s_cmp_ge_u32 s3, s14
	s_cselect_b32 s2, s12, s2
	s_cselect_b32 s3, s13, s3
	s_add_i32 s12, s2, 1
	s_cmp_ge_u32 s3, s14
	s_mov_b32 s3, 0
	s_cselect_b32 s2, s12, s2
.LBB34_3:
	s_load_b64 s[12:13], s[0:1], 0x8
	s_mul_i32 s14, s2, s14
	s_delay_alu instid0(SALU_CYCLE_1) | instskip(NEXT) | instid1(SALU_CYCLE_1)
	s_sub_i32 s16, s15, s14
	s_ashr_i32 s17, s16, 31
	s_delay_alu instid0(SALU_CYCLE_1) | instskip(SKIP_1) | instid1(SALU_CYCLE_1)
	s_or_b64 s[18:19], s[16:17], s[10:11]
	s_mov_b32 s18, 0
	s_cmp_lg_u64 s[18:19], 0
	s_cbranch_scc0 .LBB34_13
; %bb.4:
	s_ashr_i32 s20, s11, 31
	s_delay_alu instid0(SALU_CYCLE_1) | instskip(SKIP_2) | instid1(SALU_CYCLE_1)
	s_add_u32 s22, s10, s20
	s_mov_b32 s21, s20
	s_addc_u32 s23, s11, s20
	s_xor_b64 s[22:23], s[22:23], s[20:21]
	s_delay_alu instid0(SALU_CYCLE_1) | instskip(SKIP_3) | instid1(VALU_DEP_1)
	v_cvt_f32_u32_e32 v1, s22
	v_cvt_f32_u32_e32 v2, s23
	s_sub_u32 s25, 0, s22
	s_subb_u32 s26, 0, s23
	v_fmamk_f32 v1, v2, 0x4f800000, v1
	s_delay_alu instid0(VALU_DEP_1) | instskip(SKIP_2) | instid1(VALU_DEP_1)
	v_rcp_f32_e32 v1, v1
	s_waitcnt_depctr 0xfff
	v_mul_f32_e32 v1, 0x5f7ffffc, v1
	v_mul_f32_e32 v2, 0x2f800000, v1
	s_delay_alu instid0(VALU_DEP_1) | instskip(NEXT) | instid1(VALU_DEP_1)
	v_trunc_f32_e32 v2, v2
	v_fmamk_f32 v1, v2, 0xcf800000, v1
	v_cvt_u32_f32_e32 v2, v2
	s_delay_alu instid0(VALU_DEP_2) | instskip(NEXT) | instid1(VALU_DEP_2)
	v_cvt_u32_f32_e32 v1, v1
	v_readfirstlane_b32 s14, v2
	s_delay_alu instid0(VALU_DEP_2) | instskip(NEXT) | instid1(VALU_DEP_2)
	v_readfirstlane_b32 s19, v1
	s_mul_i32 s24, s25, s14
	s_delay_alu instid0(VALU_DEP_1)
	s_mul_hi_u32 s28, s25, s19
	s_mul_i32 s27, s26, s19
	s_add_i32 s24, s28, s24
	s_mul_i32 s29, s25, s19
	s_add_i32 s24, s24, s27
	s_mul_hi_u32 s28, s19, s29
	s_mul_hi_u32 s30, s14, s29
	s_mul_i32 s27, s14, s29
	s_mul_hi_u32 s29, s19, s24
	s_mul_i32 s19, s19, s24
	s_mul_hi_u32 s31, s14, s24
	s_add_u32 s19, s28, s19
	s_addc_u32 s28, 0, s29
	s_add_u32 s19, s19, s27
	s_mul_i32 s24, s14, s24
	s_addc_u32 s19, s28, s30
	s_addc_u32 s27, s31, 0
	s_add_u32 s19, s19, s24
	s_addc_u32 s24, 0, s27
	v_add_co_u32 v1, s19, v1, s19
	s_delay_alu instid0(VALU_DEP_1) | instskip(SKIP_1) | instid1(VALU_DEP_1)
	s_cmp_lg_u32 s19, 0
	s_addc_u32 s14, s14, s24
	v_readfirstlane_b32 s19, v1
	s_mul_i32 s27, s25, s14
	s_mov_b32 s24, s17
	s_delay_alu instid0(VALU_DEP_1)
	s_mul_hi_u32 s28, s25, s19
	s_mul_i32 s26, s26, s19
	s_add_i32 s27, s28, s27
	s_mul_i32 s25, s25, s19
	s_add_i32 s27, s27, s26
	s_mul_hi_u32 s28, s14, s25
	s_mul_i32 s29, s14, s25
	s_mul_hi_u32 s25, s19, s25
	s_mul_hi_u32 s30, s19, s27
	s_mul_i32 s19, s19, s27
	s_mul_hi_u32 s26, s14, s27
	s_add_u32 s19, s25, s19
	s_addc_u32 s25, 0, s30
	s_add_u32 s19, s19, s29
	s_mul_i32 s27, s14, s27
	s_addc_u32 s19, s25, s28
	s_addc_u32 s25, s26, 0
	s_add_u32 s19, s19, s27
	s_addc_u32 s26, 0, s25
	v_add_co_u32 v1, s19, v1, s19
	s_delay_alu instid0(VALU_DEP_1)
	s_cmp_lg_u32 s19, 0
	s_mov_b32 s25, s17
	s_addc_u32 s14, s14, s26
	s_add_u32 s26, s16, s17
	v_readfirstlane_b32 s19, v1
	s_addc_u32 s27, s17, s17
	s_delay_alu instid0(SALU_CYCLE_1) | instskip(NEXT) | instid1(SALU_CYCLE_1)
	s_xor_b64 s[26:27], s[26:27], s[24:25]
	s_mul_i32 s29, s26, s14
	s_delay_alu instid0(VALU_DEP_1)
	s_mul_hi_u32 s30, s26, s19
	s_mul_hi_u32 s28, s26, s14
	;; [unrolled: 1-line block ×3, first 2 shown]
	s_mul_i32 s19, s27, s19
	s_add_u32 s29, s30, s29
	s_addc_u32 s28, 0, s28
	s_mul_hi_u32 s31, s27, s14
	s_add_u32 s19, s29, s19
	s_mul_i32 s14, s27, s14
	s_addc_u32 s19, s28, s33
	s_addc_u32 s28, s31, 0
	s_add_u32 s14, s19, s14
	s_addc_u32 s19, 0, s28
	s_mul_i32 s31, s22, s14
	s_mul_hi_u32 s28, s22, s14
	s_mul_i32 s30, s22, s19
	v_sub_co_u32 v1, s26, s26, s31
	s_mul_i32 s29, s23, s14
	s_add_i32 s28, s28, s30
	s_delay_alu instid0(SALU_CYCLE_1) | instskip(NEXT) | instid1(VALU_DEP_1)
	s_add_i32 s28, s28, s29
	v_sub_co_u32 v2, s30, v1, s22
	s_sub_i32 s29, s27, s28
	s_cmp_lg_u32 s26, 0
	s_subb_u32 s29, s29, s23
	s_cmp_lg_u32 s30, 0
	v_readfirstlane_b32 s30, v2
	s_subb_u32 s29, s29, 0
	s_delay_alu instid0(SALU_CYCLE_1) | instskip(SKIP_1) | instid1(VALU_DEP_1)
	s_cmp_ge_u32 s29, s23
	s_cselect_b32 s31, -1, 0
	s_cmp_ge_u32 s30, s22
	s_cselect_b32 s30, -1, 0
	s_cmp_eq_u32 s29, s23
	s_cselect_b32 s29, s30, s31
	s_add_u32 s30, s14, 1
	s_addc_u32 s31, s19, 0
	s_add_u32 s33, s14, 2
	s_addc_u32 s34, s19, 0
	s_cmp_lg_u32 s29, 0
	s_cselect_b32 s29, s33, s30
	s_cselect_b32 s30, s34, s31
	s_cmp_lg_u32 s26, 0
	v_readfirstlane_b32 s26, v1
	s_subb_u32 s27, s27, s28
	s_delay_alu instid0(SALU_CYCLE_1) | instskip(SKIP_1) | instid1(VALU_DEP_1)
	s_cmp_ge_u32 s27, s23
	s_cselect_b32 s28, -1, 0
	s_cmp_ge_u32 s26, s22
	s_cselect_b32 s22, -1, 0
	s_cmp_eq_u32 s27, s23
	s_cselect_b32 s22, s22, s28
	s_delay_alu instid0(SALU_CYCLE_1) | instskip(SKIP_3) | instid1(SALU_CYCLE_1)
	s_cmp_lg_u32 s22, 0
	s_cselect_b32 s23, s30, s19
	s_cselect_b32 s22, s29, s14
	s_xor_b64 s[20:21], s[24:25], s[20:21]
	s_xor_b64 s[22:23], s[22:23], s[20:21]
	s_delay_alu instid0(SALU_CYCLE_1)
	s_sub_u32 s20, s22, s20
	s_subb_u32 s21, s23, s21
	s_and_not1_b32 vcc_lo, exec_lo, s18
	s_cbranch_vccnz .LBB34_6
.LBB34_5:
	v_cvt_f32_u32_e32 v1, s10
	s_sub_i32 s18, 0, s10
	s_mov_b32 s21, 0
	s_delay_alu instid0(VALU_DEP_1) | instskip(SKIP_2) | instid1(VALU_DEP_1)
	v_rcp_iflag_f32_e32 v1, v1
	s_waitcnt_depctr 0xfff
	v_mul_f32_e32 v1, 0x4f7ffffe, v1
	v_cvt_u32_f32_e32 v1, v1
	s_delay_alu instid0(VALU_DEP_1) | instskip(NEXT) | instid1(VALU_DEP_1)
	v_readfirstlane_b32 s14, v1
	s_mul_i32 s18, s18, s14
	s_delay_alu instid0(SALU_CYCLE_1) | instskip(NEXT) | instid1(SALU_CYCLE_1)
	s_mul_hi_u32 s18, s14, s18
	s_add_i32 s14, s14, s18
	s_delay_alu instid0(SALU_CYCLE_1) | instskip(NEXT) | instid1(SALU_CYCLE_1)
	s_mul_hi_u32 s14, s16, s14
	s_mul_i32 s18, s14, s10
	s_add_i32 s19, s14, 1
	s_sub_i32 s18, s16, s18
	s_delay_alu instid0(SALU_CYCLE_1)
	s_sub_i32 s20, s18, s10
	s_cmp_ge_u32 s18, s10
	s_cselect_b32 s14, s19, s14
	s_cselect_b32 s18, s20, s18
	s_add_i32 s19, s14, 1
	s_cmp_ge_u32 s18, s10
	s_cselect_b32 s20, s19, s14
.LBB34_6:
	s_delay_alu instid0(SALU_CYCLE_1)
	s_mul_i32 s11, s20, s11
	s_mul_hi_u32 s14, s20, s10
	s_mul_i32 s9, s2, s9
	s_add_i32 s11, s14, s11
	s_mul_i32 s14, s21, s10
	s_mul_i32 s10, s20, s10
	s_add_i32 s11, s11, s14
	s_sub_u32 s14, s16, s10
	s_subb_u32 s16, s17, s11
	s_mul_hi_u32 s17, s2, s8
	s_bfe_i64 s[10:11], s[2:3], 0x200000
	s_add_i32 s3, s17, s9
	s_mul_i32 s9, s11, s8
	s_mul_i32 s2, s2, s8
	s_add_i32 s3, s3, s9
	s_load_b32 s18, s[0:1], 0x5c
	s_lshl_b64 s[8:9], s[2:3], 2
	s_mul_i32 s7, s20, s7
	s_waitcnt lgkmcnt(0)
	s_add_u32 s11, s12, s8
	s_mul_hi_u32 s10, s20, s6
	s_addc_u32 s17, s13, s9
	s_bfe_i64 s[2:3], s[20:21], 0x200000
	s_add_i32 s2, s10, s7
	s_load_b32 s10, s[0:1], 0x48
	s_mul_i32 s3, s3, s6
	s_mul_i32 s16, s16, s4
	s_add_i32 s3, s2, s3
	s_mul_i32 s2, s20, s6
	s_delay_alu instid0(SALU_CYCLE_1)
	s_lshl_b64 s[6:7], s[2:3], 2
	s_mul_i32 s2, s14, s5
	s_mul_hi_u32 s3, s14, s4
	s_add_u32 s11, s11, s6
	s_addc_u32 s17, s17, s7
	s_add_i32 s2, s3, s2
	s_delay_alu instid0(SALU_CYCLE_1) | instskip(SKIP_1) | instid1(SALU_CYCLE_1)
	s_add_i32 s3, s2, s16
	s_mul_i32 s2, s14, s4
	s_lshl_b64 s[4:5], s[2:3], 2
	s_mov_b32 s3, 0
	s_add_u32 s11, s11, s4
	s_addc_u32 s14, s17, s5
	s_and_b32 s2, s11, 3
	s_and_b32 s16, s18, 0xffff
	s_cmp_lg_u64 s[2:3], 0
	s_cbranch_scc0 .LBB34_14
; %bb.7:
	v_mov_b32_e32 v3, 0
	s_waitcnt lgkmcnt(0)
	s_min_i32 s2, s10, 0
	s_mov_b32 s17, exec_lo
	s_sub_i32 s18, s10, s2
	s_delay_alu instid0(SALU_CYCLE_1)
	v_cmpx_gt_i32_e64 s18, v0
	s_cbranch_execz .LBB34_11
; %bb.8:
	s_ashr_i32 s3, s2, 31
	s_add_u32 s19, s4, s8
	s_addc_u32 s20, s5, s9
	s_add_u32 s19, s19, s6
	s_addc_u32 s20, s20, s7
	s_lshl_b64 s[2:3], s[2:3], 2
	v_dual_mov_b32 v4, v0 :: v_dual_lshlrev_b32 v1, 2, v0
	s_add_u32 s2, s19, s2
	s_addc_u32 s3, s20, s3
	s_add_u32 s2, s12, s2
	s_addc_u32 s3, s13, s3
	v_add_co_u32 v1, s2, s2, v1
	s_delay_alu instid0(VALU_DEP_1)
	v_add_co_ci_u32_e64 v2, null, s3, 0, s2
	v_mov_b32_e32 v3, 0
	s_mov_b32 s3, 0
	s_lshl_b32 s19, s16, 2
.LBB34_9:                               ; =>This Inner Loop Header: Depth=1
	global_load_b32 v5, v[1:2], off
	v_add_nc_u32_e32 v4, s16, v4
	v_add_co_u32 v1, vcc_lo, v1, s19
	v_add_co_ci_u32_e32 v2, vcc_lo, 0, v2, vcc_lo
	s_waitcnt vmcnt(0)
	v_fmac_f32_e32 v3, v5, v5
	v_cmp_le_i32_e64 s2, s18, v4
	s_delay_alu instid0(VALU_DEP_1) | instskip(NEXT) | instid1(SALU_CYCLE_1)
	s_or_b32 s3, s2, s3
	s_and_not1_b32 exec_lo, exec_lo, s3
	s_cbranch_execnz .LBB34_9
; %bb.10:
	s_or_b32 exec_lo, exec_lo, s3
.LBB34_11:
	s_delay_alu instid0(SALU_CYCLE_1)
	s_or_b32 exec_lo, exec_lo, s17
	v_cmp_gt_i32_e64 s2, s10, v0
	s_cbranch_execz .LBB34_15
	s_branch .LBB34_20
.LBB34_12:
                                        ; implicit-def: $sgpr2_sgpr3
	s_branch .LBB34_2
.LBB34_13:
                                        ; implicit-def: $sgpr20_sgpr21
	s_branch .LBB34_5
.LBB34_14:
                                        ; implicit-def: $vgpr3
	s_waitcnt lgkmcnt(0)
	v_cmp_gt_i32_e64 s2, s10, v0
.LBB34_15:
	v_mov_b32_e32 v3, 0
	s_delay_alu instid0(VALU_DEP_2)
	s_and_saveexec_b32 s3, s2
	s_cbranch_execz .LBB34_19
; %bb.16:
	s_add_u32 s2, s4, s8
	s_addc_u32 s4, s5, s9
	v_dual_mov_b32 v4, v0 :: v_dual_lshlrev_b32 v1, 2, v0
	s_add_u32 s2, s2, s6
	s_addc_u32 s4, s4, s7
	s_add_u32 s2, s12, s2
	s_addc_u32 s4, s13, s4
	v_add_co_u32 v1, s2, s2, v1
	s_delay_alu instid0(VALU_DEP_1)
	v_add_co_ci_u32_e64 v2, null, s4, 0, s2
	v_mov_b32_e32 v3, 0
	s_mov_b32 s4, 0
	s_lshl_b32 s5, s16, 2
.LBB34_17:                              ; =>This Inner Loop Header: Depth=1
	global_load_b32 v5, v[1:2], off
	v_add_nc_u32_e32 v4, s16, v4
	v_add_co_u32 v1, vcc_lo, v1, s5
	v_add_co_ci_u32_e32 v2, vcc_lo, 0, v2, vcc_lo
	s_waitcnt vmcnt(0)
	v_fmac_f32_e32 v3, v5, v5
	v_cmp_le_i32_e64 s2, s10, v4
	s_delay_alu instid0(VALU_DEP_1) | instskip(NEXT) | instid1(SALU_CYCLE_1)
	s_or_b32 s4, s2, s4
	s_and_not1_b32 exec_lo, exec_lo, s4
	s_cbranch_execnz .LBB34_17
; %bb.18:
	s_or_b32 exec_lo, exec_lo, s4
.LBB34_19:
	s_delay_alu instid0(SALU_CYCLE_1)
	s_or_b32 exec_lo, exec_lo, s3
.LBB34_20:
	v_mbcnt_lo_u32_b32 v1, -1, 0
	s_mov_b32 s2, exec_lo
	s_delay_alu instid0(VALU_DEP_1) | instskip(SKIP_2) | instid1(VALU_DEP_2)
	v_cmp_ne_u32_e32 vcc_lo, 31, v1
	v_add_co_ci_u32_e32 v2, vcc_lo, 0, v1, vcc_lo
	v_cmp_gt_u32_e32 vcc_lo, 30, v1
	v_lshlrev_b32_e32 v2, 2, v2
	v_cndmask_b32_e64 v6, 0, 1, vcc_lo
	ds_bpermute_b32 v5, v2, v3
	s_waitcnt lgkmcnt(0)
	v_dual_add_f32 v7, v3, v5 :: v_dual_and_b32 v4, 0x3e0, v0
	s_delay_alu instid0(VALU_DEP_1) | instskip(SKIP_1) | instid1(VALU_DEP_1)
	v_sub_nc_u32_e64 v12, s16, v4 clamp
	v_add_nc_u32_e32 v4, 1, v1
	v_cmp_lt_u32_e32 vcc_lo, v4, v12
	s_delay_alu instid0(VALU_DEP_4) | instskip(SKIP_2) | instid1(VALU_DEP_1)
	v_cndmask_b32_e32 v7, v3, v7, vcc_lo
	v_cmp_gt_u32_e32 vcc_lo, 28, v1
	v_cndmask_b32_e64 v3, 0, 1, vcc_lo
	v_lshlrev_b32_e32 v8, 2, v3
	v_add_nc_u32_e32 v3, 2, v1
	s_delay_alu instid0(VALU_DEP_1) | instskip(SKIP_1) | instid1(VALU_DEP_1)
	v_cmp_lt_u32_e32 vcc_lo, v3, v12
	v_lshlrev_b32_e32 v6, 1, v6
	v_add_lshl_u32 v5, v6, v1, 2
	ds_bpermute_b32 v6, v5, v7
	s_waitcnt lgkmcnt(0)
	v_add_f32_e32 v9, v7, v6
	v_add_lshl_u32 v6, v8, v1, 2
	s_delay_alu instid0(VALU_DEP_2) | instskip(SKIP_3) | instid1(VALU_DEP_1)
	v_cndmask_b32_e32 v9, v7, v9, vcc_lo
	v_cmp_gt_u32_e32 vcc_lo, 24, v1
	ds_bpermute_b32 v8, v6, v9
	v_cndmask_b32_e64 v7, 0, 1, vcc_lo
	v_lshlrev_b32_e32 v10, 3, v7
	v_add_nc_u32_e32 v7, 4, v1
	s_delay_alu instid0(VALU_DEP_1) | instskip(SKIP_3) | instid1(VALU_DEP_2)
	v_cmp_lt_u32_e32 vcc_lo, v7, v12
	s_waitcnt lgkmcnt(0)
	v_add_f32_e32 v11, v9, v8
	v_add_lshl_u32 v8, v10, v1, 2
	v_cndmask_b32_e32 v11, v9, v11, vcc_lo
	v_cmp_gt_u32_e32 vcc_lo, 16, v1
	ds_bpermute_b32 v10, v8, v11
	v_cndmask_b32_e64 v9, 0, 1, vcc_lo
	s_delay_alu instid0(VALU_DEP_1) | instskip(SKIP_1) | instid1(VALU_DEP_1)
	v_lshlrev_b32_e32 v13, 4, v9
	v_add_nc_u32_e32 v9, 8, v1
	v_cmp_lt_u32_e32 vcc_lo, v9, v12
	s_waitcnt lgkmcnt(0)
	v_add_f32_e32 v14, v11, v10
	v_add_lshl_u32 v10, v13, v1, 2
	s_delay_alu instid0(VALU_DEP_2)
	v_cndmask_b32_e32 v13, v11, v14, vcc_lo
	v_add_nc_u32_e32 v11, 16, v1
	ds_bpermute_b32 v14, v10, v13
	v_cmp_lt_u32_e32 vcc_lo, v11, v12
	s_waitcnt lgkmcnt(0)
	v_add_f32_e32 v14, v13, v14
	s_delay_alu instid0(VALU_DEP_1)
	v_cndmask_b32_e32 v12, v13, v14, vcc_lo
	v_cmpx_eq_u32_e32 0, v1
	s_cbranch_execz .LBB34_22
; %bb.21:
	v_lshrrev_b32_e32 v13, 3, v0
	s_delay_alu instid0(VALU_DEP_1)
	v_and_b32_e32 v13, 0x7c, v13
	ds_store_b32 v13, v12
.LBB34_22:
	s_or_b32 exec_lo, exec_lo, s2
	s_delay_alu instid0(SALU_CYCLE_1)
	s_mov_b32 s2, exec_lo
	s_waitcnt lgkmcnt(0)
	s_barrier
	buffer_gl0_inv
	v_cmpx_gt_u32_e32 32, v0
	s_cbranch_execz .LBB34_24
; %bb.23:
	v_lshlrev_b32_e32 v1, 2, v1
	s_add_i32 s3, s16, 31
	s_delay_alu instid0(SALU_CYCLE_1) | instskip(NEXT) | instid1(SALU_CYCLE_1)
	s_lshr_b32 s3, s3, 5
	v_cmp_gt_u32_e32 vcc_lo, s3, v4
	ds_load_b32 v1, v1
	s_waitcnt lgkmcnt(0)
	ds_bpermute_b32 v2, v2, v1
	s_waitcnt lgkmcnt(0)
	v_add_f32_e32 v2, v1, v2
	s_delay_alu instid0(VALU_DEP_1) | instskip(SKIP_4) | instid1(VALU_DEP_1)
	v_cndmask_b32_e32 v1, v1, v2, vcc_lo
	v_cmp_gt_u32_e32 vcc_lo, s3, v3
	ds_bpermute_b32 v2, v5, v1
	s_waitcnt lgkmcnt(0)
	v_add_f32_e32 v2, v1, v2
	v_cndmask_b32_e32 v1, v1, v2, vcc_lo
	v_cmp_gt_u32_e32 vcc_lo, s3, v7
	ds_bpermute_b32 v2, v6, v1
	s_waitcnt lgkmcnt(0)
	v_add_f32_e32 v2, v1, v2
	s_delay_alu instid0(VALU_DEP_1) | instskip(SKIP_4) | instid1(VALU_DEP_1)
	v_cndmask_b32_e32 v1, v1, v2, vcc_lo
	v_cmp_gt_u32_e32 vcc_lo, s3, v9
	ds_bpermute_b32 v2, v8, v1
	s_waitcnt lgkmcnt(0)
	v_add_f32_e32 v2, v1, v2
	v_cndmask_b32_e32 v1, v1, v2, vcc_lo
	v_cmp_gt_u32_e32 vcc_lo, s3, v11
	ds_bpermute_b32 v2, v10, v1
	s_waitcnt lgkmcnt(0)
	v_add_f32_e32 v2, v1, v2
	s_delay_alu instid0(VALU_DEP_1)
	v_cndmask_b32_e32 v12, v1, v2, vcc_lo
.LBB34_24:
	s_or_b32 exec_lo, exec_lo, s2
	s_delay_alu instid0(SALU_CYCLE_1)
	s_mov_b32 s2, exec_lo
	v_cmpx_eq_u32_e32 0, v0
	s_cbranch_execz .LBB34_26
; %bb.25:
	v_cvt_f32_i32_e32 v1, s10
	s_load_b32 s3, s[0:1], 0x40
	s_delay_alu instid0(VALU_DEP_1) | instskip(SKIP_1) | instid1(VALU_DEP_2)
	v_div_scale_f32 v2, null, v1, v1, v12
	v_div_scale_f32 v5, vcc_lo, v12, v1, v12
	v_rcp_f32_e32 v3, v2
	s_waitcnt_depctr 0xfff
	v_fma_f32 v4, -v2, v3, 1.0
	s_delay_alu instid0(VALU_DEP_1) | instskip(NEXT) | instid1(VALU_DEP_1)
	v_fmac_f32_e32 v3, v4, v3
	v_mul_f32_e32 v4, v5, v3
	s_delay_alu instid0(VALU_DEP_1) | instskip(NEXT) | instid1(VALU_DEP_1)
	v_fma_f32 v6, -v2, v4, v5
	v_fmac_f32_e32 v4, v6, v3
	s_delay_alu instid0(VALU_DEP_1) | instskip(NEXT) | instid1(VALU_DEP_1)
	v_fma_f32 v2, -v2, v4, v5
	v_div_fmas_f32 v2, v2, v3, v4
	s_delay_alu instid0(VALU_DEP_1) | instskip(SKIP_1) | instid1(VALU_DEP_1)
	v_div_fixup_f32 v1, v2, v1, v12
	s_waitcnt lgkmcnt(0)
	v_add_f32_e32 v1, s3, v1
	s_delay_alu instid0(VALU_DEP_1) | instskip(SKIP_1) | instid1(VALU_DEP_2)
	v_mul_f32_e32 v2, 0x4b800000, v1
	v_cmp_gt_f32_e32 vcc_lo, 0x800000, v1
	v_cndmask_b32_e32 v1, v1, v2, vcc_lo
	s_delay_alu instid0(VALU_DEP_1) | instskip(SKIP_2) | instid1(VALU_DEP_1)
	v_rsq_f32_e32 v1, v1
	s_waitcnt_depctr 0xfff
	v_mul_f32_e32 v2, 0x45800000, v1
	v_dual_cndmask_b32 v1, v1, v2 :: v_dual_mov_b32 v2, 0
	ds_store_b32 v2, v1 offset:128
.LBB34_26:
	s_or_b32 exec_lo, exec_lo, s2
	s_waitcnt lgkmcnt(0)
	s_barrier
	buffer_gl0_inv
	s_mov_b32 s2, exec_lo
	v_cmpx_gt_i32_e64 s10, v0
	s_cbranch_execz .LBB34_29
; %bb.27:
	v_mov_b32_e32 v1, 0
	s_clause 0x1
	s_load_b64 s[4:5], s[0:1], 0x0
	s_load_b64 s[2:3], s[0:1], 0x38
	s_mul_i32 s0, s15, s10
	s_mov_b32 s1, 0
	s_delay_alu instid0(SALU_CYCLE_1)
	s_lshl_b64 s[6:7], s[0:1], 2
	ds_load_b32 v2, v1 offset:128
	s_waitcnt lgkmcnt(0)
	s_add_u32 s4, s4, s6
	s_addc_u32 s5, s5, s7
	.p2align	6
.LBB34_28:                              ; =>This Inner Loop Header: Depth=1
	v_ashrrev_i32_e32 v1, 31, v0
	s_delay_alu instid0(VALU_DEP_1) | instskip(NEXT) | instid1(VALU_DEP_1)
	v_lshlrev_b64 v[3:4], 2, v[0:1]
	v_add_co_u32 v5, vcc_lo, s11, v3
	s_delay_alu instid0(VALU_DEP_2)
	v_add_co_ci_u32_e32 v6, vcc_lo, s14, v4, vcc_lo
	v_add_co_u32 v7, vcc_lo, s2, v3
	v_add_co_ci_u32_e32 v8, vcc_lo, s3, v4, vcc_lo
	v_add_co_u32 v3, s0, s4, v3
	global_load_b32 v1, v[5:6], off
	global_load_b32 v5, v[7:8], off
	v_add_nc_u32_e32 v0, s16, v0
	v_add_co_ci_u32_e64 v4, s0, s5, v4, s0
	s_waitcnt vmcnt(1)
	v_mul_f32_e32 v1, v1, v2
	s_delay_alu instid0(VALU_DEP_3) | instskip(SKIP_1) | instid1(VALU_DEP_2)
	v_cmp_le_i32_e32 vcc_lo, s10, v0
	s_waitcnt vmcnt(0)
	v_mul_f32_e32 v1, v5, v1
	s_or_b32 s1, vcc_lo, s1
	global_store_b32 v[3:4], v1, off
	s_and_not1_b32 exec_lo, exec_lo, s1
	s_cbranch_execnz .LBB34_28
.LBB34_29:
	s_nop 0
	s_sendmsg sendmsg(MSG_DEALLOC_VGPRS)
	s_endpgm
	.section	.rodata,"a",@progbits
	.p2align	6, 0x0
	.amdhsa_kernel _ZN4vllm15rms_norm_kernelIfLi1ELi4EEEvPT_PKS1_lllllS4_fii
		.amdhsa_group_segment_fixed_size 132
		.amdhsa_private_segment_fixed_size 0
		.amdhsa_kernarg_size 336
		.amdhsa_user_sgpr_count 15
		.amdhsa_user_sgpr_dispatch_ptr 0
		.amdhsa_user_sgpr_queue_ptr 0
		.amdhsa_user_sgpr_kernarg_segment_ptr 1
		.amdhsa_user_sgpr_dispatch_id 0
		.amdhsa_user_sgpr_private_segment_size 0
		.amdhsa_wavefront_size32 1
		.amdhsa_uses_dynamic_stack 0
		.amdhsa_enable_private_segment 0
		.amdhsa_system_sgpr_workgroup_id_x 1
		.amdhsa_system_sgpr_workgroup_id_y 0
		.amdhsa_system_sgpr_workgroup_id_z 0
		.amdhsa_system_sgpr_workgroup_info 0
		.amdhsa_system_vgpr_workitem_id 0
		.amdhsa_next_free_vgpr 15
		.amdhsa_next_free_sgpr 35
		.amdhsa_reserve_vcc 1
		.amdhsa_float_round_mode_32 0
		.amdhsa_float_round_mode_16_64 0
		.amdhsa_float_denorm_mode_32 3
		.amdhsa_float_denorm_mode_16_64 3
		.amdhsa_dx10_clamp 1
		.amdhsa_ieee_mode 1
		.amdhsa_fp16_overflow 0
		.amdhsa_workgroup_processor_mode 1
		.amdhsa_memory_ordered 1
		.amdhsa_forward_progress 0
		.amdhsa_shared_vgpr_count 0
		.amdhsa_exception_fp_ieee_invalid_op 0
		.amdhsa_exception_fp_denorm_src 0
		.amdhsa_exception_fp_ieee_div_zero 0
		.amdhsa_exception_fp_ieee_overflow 0
		.amdhsa_exception_fp_ieee_underflow 0
		.amdhsa_exception_fp_ieee_inexact 0
		.amdhsa_exception_int_div_zero 0
	.end_amdhsa_kernel
	.section	.text._ZN4vllm15rms_norm_kernelIfLi1ELi4EEEvPT_PKS1_lllllS4_fii,"axG",@progbits,_ZN4vllm15rms_norm_kernelIfLi1ELi4EEEvPT_PKS1_lllllS4_fii,comdat
.Lfunc_end34:
	.size	_ZN4vllm15rms_norm_kernelIfLi1ELi4EEEvPT_PKS1_lllllS4_fii, .Lfunc_end34-_ZN4vllm15rms_norm_kernelIfLi1ELi4EEEvPT_PKS1_lllllS4_fii
                                        ; -- End function
	.section	.AMDGPU.csdata,"",@progbits
; Kernel info:
; codeLenInByte = 3088
; NumSgprs: 37
; NumVgprs: 15
; ScratchSize: 0
; MemoryBound: 0
; FloatMode: 240
; IeeeMode: 1
; LDSByteSize: 132 bytes/workgroup (compile time only)
; SGPRBlocks: 4
; VGPRBlocks: 1
; NumSGPRsForWavesPerEU: 37
; NumVGPRsForWavesPerEU: 15
; Occupancy: 16
; WaveLimiterHint : 0
; COMPUTE_PGM_RSRC2:SCRATCH_EN: 0
; COMPUTE_PGM_RSRC2:USER_SGPR: 15
; COMPUTE_PGM_RSRC2:TRAP_HANDLER: 0
; COMPUTE_PGM_RSRC2:TGID_X_EN: 1
; COMPUTE_PGM_RSRC2:TGID_Y_EN: 0
; COMPUTE_PGM_RSRC2:TGID_Z_EN: 0
; COMPUTE_PGM_RSRC2:TIDIG_COMP_CNT: 0
	.section	.text._ZN4vllm15rms_norm_kernelIN3c104HalfELi16ELi4EEEvPT_PKS3_lllllS6_fii,"axG",@progbits,_ZN4vllm15rms_norm_kernelIN3c104HalfELi16ELi4EEEvPT_PKS3_lllllS6_fii,comdat
	.protected	_ZN4vllm15rms_norm_kernelIN3c104HalfELi16ELi4EEEvPT_PKS3_lllllS6_fii ; -- Begin function _ZN4vllm15rms_norm_kernelIN3c104HalfELi16ELi4EEEvPT_PKS3_lllllS6_fii
	.globl	_ZN4vllm15rms_norm_kernelIN3c104HalfELi16ELi4EEEvPT_PKS3_lllllS6_fii
	.p2align	8
	.type	_ZN4vllm15rms_norm_kernelIN3c104HalfELi16ELi4EEEvPT_PKS3_lllllS6_fii,@function
_ZN4vllm15rms_norm_kernelIN3c104HalfELi16ELi4EEEvPT_PKS3_lllllS6_fii: ; @_ZN4vllm15rms_norm_kernelIN3c104HalfELi16ELi4EEEvPT_PKS3_lllllS6_fii
; %bb.0:
	s_clause 0x1
	s_load_b256 s[4:11], s[0:1], 0x10
	s_load_b64 s[2:3], s[0:1], 0x30
	s_waitcnt lgkmcnt(0)
	s_mul_i32 s12, s2, s11
	s_mul_hi_u32 s13, s2, s10
	s_mul_i32 s3, s3, s10
	s_add_i32 s13, s13, s12
	s_mov_b32 s12, 0
	s_add_i32 s13, s13, s3
	s_mul_i32 s14, s2, s10
	s_cmp_lg_u64 s[12:13], 0
	s_cbranch_scc0 .LBB35_36
; %bb.1:
	s_ashr_i32 s16, s13, 31
	s_delay_alu instid0(SALU_CYCLE_1) | instskip(SKIP_2) | instid1(SALU_CYCLE_1)
	s_add_u32 s2, s14, s16
	s_mov_b32 s17, s16
	s_addc_u32 s3, s13, s16
	s_xor_b64 s[2:3], s[2:3], s[16:17]
	s_delay_alu instid0(SALU_CYCLE_1) | instskip(SKIP_3) | instid1(VALU_DEP_1)
	v_cvt_f32_u32_e32 v1, s2
	v_cvt_f32_u32_e32 v2, s3
	s_sub_u32 s19, 0, s2
	s_subb_u32 s20, 0, s3
	v_fmamk_f32 v1, v2, 0x4f800000, v1
	s_delay_alu instid0(VALU_DEP_1) | instskip(SKIP_2) | instid1(VALU_DEP_1)
	v_rcp_f32_e32 v1, v1
	s_waitcnt_depctr 0xfff
	v_mul_f32_e32 v1, 0x5f7ffffc, v1
	v_mul_f32_e32 v2, 0x2f800000, v1
	s_delay_alu instid0(VALU_DEP_1) | instskip(NEXT) | instid1(VALU_DEP_1)
	v_trunc_f32_e32 v2, v2
	v_fmamk_f32 v1, v2, 0xcf800000, v1
	v_cvt_u32_f32_e32 v2, v2
	s_delay_alu instid0(VALU_DEP_2) | instskip(NEXT) | instid1(VALU_DEP_2)
	v_cvt_u32_f32_e32 v1, v1
	v_readfirstlane_b32 s13, v2
	s_delay_alu instid0(VALU_DEP_2) | instskip(NEXT) | instid1(VALU_DEP_2)
	v_readfirstlane_b32 s18, v1
	s_mul_i32 s21, s19, s13
	s_delay_alu instid0(VALU_DEP_1)
	s_mul_hi_u32 s23, s19, s18
	s_mul_i32 s22, s20, s18
	s_add_i32 s21, s23, s21
	s_mul_i32 s24, s19, s18
	s_add_i32 s21, s21, s22
	s_mul_hi_u32 s23, s18, s24
	s_mul_hi_u32 s25, s13, s24
	s_mul_i32 s22, s13, s24
	s_mul_hi_u32 s24, s18, s21
	s_mul_i32 s18, s18, s21
	s_mul_hi_u32 s26, s13, s21
	s_add_u32 s18, s23, s18
	s_addc_u32 s23, 0, s24
	s_add_u32 s18, s18, s22
	s_mul_i32 s21, s13, s21
	s_addc_u32 s18, s23, s25
	s_addc_u32 s22, s26, 0
	s_add_u32 s18, s18, s21
	s_addc_u32 s21, 0, s22
	v_add_co_u32 v1, s18, v1, s18
	s_delay_alu instid0(VALU_DEP_1) | instskip(SKIP_1) | instid1(VALU_DEP_1)
	s_cmp_lg_u32 s18, 0
	s_addc_u32 s13, s13, s21
	v_readfirstlane_b32 s18, v1
	s_mul_i32 s21, s19, s13
	s_delay_alu instid0(VALU_DEP_1)
	s_mul_hi_u32 s22, s19, s18
	s_mul_i32 s20, s20, s18
	s_add_i32 s21, s22, s21
	s_mul_i32 s19, s19, s18
	s_add_i32 s21, s21, s20
	s_mul_hi_u32 s22, s13, s19
	s_mul_i32 s23, s13, s19
	s_mul_hi_u32 s19, s18, s19
	s_mul_hi_u32 s24, s18, s21
	s_mul_i32 s18, s18, s21
	s_mul_hi_u32 s20, s13, s21
	s_add_u32 s18, s19, s18
	s_addc_u32 s19, 0, s24
	s_add_u32 s18, s18, s23
	s_mul_i32 s21, s13, s21
	s_addc_u32 s18, s19, s22
	s_addc_u32 s19, s20, 0
	s_add_u32 s18, s18, s21
	s_addc_u32 s19, 0, s19
	v_add_co_u32 v1, s18, v1, s18
	s_delay_alu instid0(VALU_DEP_1) | instskip(SKIP_1) | instid1(VALU_DEP_1)
	s_cmp_lg_u32 s18, 0
	s_addc_u32 s13, s13, s19
	v_readfirstlane_b32 s18, v1
	s_mul_i32 s19, s15, s13
	s_mul_hi_u32 s13, s15, s13
	s_delay_alu instid0(VALU_DEP_1) | instskip(NEXT) | instid1(SALU_CYCLE_1)
	s_mul_hi_u32 s18, s15, s18
	s_add_u32 s18, s18, s19
	s_addc_u32 s13, 0, s13
	s_add_u32 s18, s18, 0
	s_addc_u32 s13, s13, 0
	s_addc_u32 s18, 0, 0
	s_add_u32 s13, s13, 0
	s_addc_u32 s18, 0, s18
	s_mul_hi_u32 s19, s2, s13
	s_mul_i32 s21, s2, s18
	s_mul_i32 s22, s2, s13
	s_add_i32 s19, s19, s21
	v_sub_co_u32 v1, s21, s15, s22
	s_mul_i32 s20, s3, s13
	s_delay_alu instid0(SALU_CYCLE_1) | instskip(NEXT) | instid1(VALU_DEP_1)
	s_add_i32 s19, s19, s20
	v_sub_co_u32 v2, s22, v1, s2
	s_sub_i32 s20, 0, s19
	s_cmp_lg_u32 s21, 0
	s_subb_u32 s20, s20, s3
	s_cmp_lg_u32 s22, 0
	v_readfirstlane_b32 s22, v2
	s_subb_u32 s20, s20, 0
	s_delay_alu instid0(SALU_CYCLE_1) | instskip(SKIP_1) | instid1(VALU_DEP_1)
	s_cmp_ge_u32 s20, s3
	s_cselect_b32 s23, -1, 0
	s_cmp_ge_u32 s22, s2
	s_cselect_b32 s22, -1, 0
	s_cmp_eq_u32 s20, s3
	s_cselect_b32 s20, s22, s23
	s_add_u32 s22, s13, 1
	s_addc_u32 s23, s18, 0
	s_add_u32 s24, s13, 2
	s_addc_u32 s25, s18, 0
	s_cmp_lg_u32 s20, 0
	s_cselect_b32 s20, s24, s22
	s_cselect_b32 s22, s25, s23
	s_cmp_lg_u32 s21, 0
	v_readfirstlane_b32 s21, v1
	s_subb_u32 s19, 0, s19
	s_delay_alu instid0(SALU_CYCLE_1) | instskip(SKIP_1) | instid1(VALU_DEP_1)
	s_cmp_ge_u32 s19, s3
	s_cselect_b32 s23, -1, 0
	s_cmp_ge_u32 s21, s2
	s_cselect_b32 s2, -1, 0
	s_cmp_eq_u32 s19, s3
	s_cselect_b32 s2, s2, s23
	s_delay_alu instid0(SALU_CYCLE_1) | instskip(SKIP_2) | instid1(SALU_CYCLE_1)
	s_cmp_lg_u32 s2, 0
	s_cselect_b32 s3, s22, s18
	s_cselect_b32 s2, s20, s13
	s_xor_b64 s[2:3], s[2:3], s[16:17]
	s_delay_alu instid0(SALU_CYCLE_1)
	s_sub_u32 s2, s2, s16
	s_subb_u32 s3, s3, s16
	s_and_not1_b32 vcc_lo, exec_lo, s12
	s_cbranch_vccnz .LBB35_3
.LBB35_2:
	v_cvt_f32_u32_e32 v1, s14
	s_sub_i32 s3, 0, s14
	s_delay_alu instid0(VALU_DEP_1) | instskip(SKIP_2) | instid1(VALU_DEP_1)
	v_rcp_iflag_f32_e32 v1, v1
	s_waitcnt_depctr 0xfff
	v_mul_f32_e32 v1, 0x4f7ffffe, v1
	v_cvt_u32_f32_e32 v1, v1
	s_delay_alu instid0(VALU_DEP_1) | instskip(NEXT) | instid1(VALU_DEP_1)
	v_readfirstlane_b32 s2, v1
	s_mul_i32 s3, s3, s2
	s_delay_alu instid0(SALU_CYCLE_1) | instskip(NEXT) | instid1(SALU_CYCLE_1)
	s_mul_hi_u32 s3, s2, s3
	s_add_i32 s2, s2, s3
	s_delay_alu instid0(SALU_CYCLE_1) | instskip(NEXT) | instid1(SALU_CYCLE_1)
	s_mul_hi_u32 s2, s15, s2
	s_mul_i32 s3, s2, s14
	s_add_i32 s12, s2, 1
	s_sub_i32 s3, s15, s3
	s_delay_alu instid0(SALU_CYCLE_1)
	s_sub_i32 s13, s3, s14
	s_cmp_ge_u32 s3, s14
	s_cselect_b32 s2, s12, s2
	s_cselect_b32 s3, s13, s3
	s_add_i32 s12, s2, 1
	s_cmp_ge_u32 s3, s14
	s_mov_b32 s3, 0
	s_cselect_b32 s2, s12, s2
.LBB35_3:
	s_load_b64 s[12:13], s[0:1], 0x8
	s_mul_i32 s14, s2, s14
	s_delay_alu instid0(SALU_CYCLE_1) | instskip(NEXT) | instid1(SALU_CYCLE_1)
	s_sub_i32 s16, s15, s14
	s_ashr_i32 s17, s16, 31
	s_delay_alu instid0(SALU_CYCLE_1) | instskip(SKIP_1) | instid1(SALU_CYCLE_1)
	s_or_b64 s[18:19], s[16:17], s[10:11]
	s_mov_b32 s18, 0
	s_cmp_lg_u64 s[18:19], 0
	s_cbranch_scc0 .LBB35_37
; %bb.4:
	s_ashr_i32 s20, s11, 31
	s_delay_alu instid0(SALU_CYCLE_1) | instskip(SKIP_2) | instid1(SALU_CYCLE_1)
	s_add_u32 s22, s10, s20
	s_mov_b32 s21, s20
	s_addc_u32 s23, s11, s20
	s_xor_b64 s[22:23], s[22:23], s[20:21]
	s_delay_alu instid0(SALU_CYCLE_1) | instskip(SKIP_3) | instid1(VALU_DEP_1)
	v_cvt_f32_u32_e32 v1, s22
	v_cvt_f32_u32_e32 v2, s23
	s_sub_u32 s25, 0, s22
	s_subb_u32 s26, 0, s23
	v_fmamk_f32 v1, v2, 0x4f800000, v1
	s_delay_alu instid0(VALU_DEP_1) | instskip(SKIP_2) | instid1(VALU_DEP_1)
	v_rcp_f32_e32 v1, v1
	s_waitcnt_depctr 0xfff
	v_mul_f32_e32 v1, 0x5f7ffffc, v1
	v_mul_f32_e32 v2, 0x2f800000, v1
	s_delay_alu instid0(VALU_DEP_1) | instskip(NEXT) | instid1(VALU_DEP_1)
	v_trunc_f32_e32 v2, v2
	v_fmamk_f32 v1, v2, 0xcf800000, v1
	v_cvt_u32_f32_e32 v2, v2
	s_delay_alu instid0(VALU_DEP_2) | instskip(NEXT) | instid1(VALU_DEP_2)
	v_cvt_u32_f32_e32 v1, v1
	v_readfirstlane_b32 s14, v2
	s_delay_alu instid0(VALU_DEP_2) | instskip(NEXT) | instid1(VALU_DEP_2)
	v_readfirstlane_b32 s19, v1
	s_mul_i32 s24, s25, s14
	s_delay_alu instid0(VALU_DEP_1)
	s_mul_hi_u32 s28, s25, s19
	s_mul_i32 s27, s26, s19
	s_add_i32 s24, s28, s24
	s_mul_i32 s29, s25, s19
	s_add_i32 s24, s24, s27
	s_mul_hi_u32 s28, s19, s29
	s_mul_hi_u32 s30, s14, s29
	s_mul_i32 s27, s14, s29
	s_mul_hi_u32 s29, s19, s24
	s_mul_i32 s19, s19, s24
	s_mul_hi_u32 s31, s14, s24
	s_add_u32 s19, s28, s19
	s_addc_u32 s28, 0, s29
	s_add_u32 s19, s19, s27
	s_mul_i32 s24, s14, s24
	s_addc_u32 s19, s28, s30
	s_addc_u32 s27, s31, 0
	s_add_u32 s19, s19, s24
	s_addc_u32 s24, 0, s27
	v_add_co_u32 v1, s19, v1, s19
	s_delay_alu instid0(VALU_DEP_1) | instskip(SKIP_1) | instid1(VALU_DEP_1)
	s_cmp_lg_u32 s19, 0
	s_addc_u32 s14, s14, s24
	v_readfirstlane_b32 s19, v1
	s_mul_i32 s27, s25, s14
	s_mov_b32 s24, s17
	s_delay_alu instid0(VALU_DEP_1)
	s_mul_hi_u32 s28, s25, s19
	s_mul_i32 s26, s26, s19
	s_add_i32 s27, s28, s27
	s_mul_i32 s25, s25, s19
	s_add_i32 s27, s27, s26
	s_mul_hi_u32 s28, s14, s25
	s_mul_i32 s29, s14, s25
	s_mul_hi_u32 s25, s19, s25
	s_mul_hi_u32 s30, s19, s27
	s_mul_i32 s19, s19, s27
	s_mul_hi_u32 s26, s14, s27
	s_add_u32 s19, s25, s19
	s_addc_u32 s25, 0, s30
	s_add_u32 s19, s19, s29
	s_mul_i32 s27, s14, s27
	s_addc_u32 s19, s25, s28
	s_addc_u32 s25, s26, 0
	s_add_u32 s19, s19, s27
	s_addc_u32 s26, 0, s25
	v_add_co_u32 v1, s19, v1, s19
	s_delay_alu instid0(VALU_DEP_1)
	s_cmp_lg_u32 s19, 0
	s_mov_b32 s25, s17
	s_addc_u32 s14, s14, s26
	s_add_u32 s26, s16, s17
	v_readfirstlane_b32 s19, v1
	s_addc_u32 s27, s17, s17
	s_delay_alu instid0(SALU_CYCLE_1) | instskip(NEXT) | instid1(SALU_CYCLE_1)
	s_xor_b64 s[26:27], s[26:27], s[24:25]
	s_mul_i32 s29, s26, s14
	s_delay_alu instid0(VALU_DEP_1)
	s_mul_hi_u32 s30, s26, s19
	s_mul_hi_u32 s28, s26, s14
	;; [unrolled: 1-line block ×3, first 2 shown]
	s_mul_i32 s19, s27, s19
	s_add_u32 s29, s30, s29
	s_addc_u32 s28, 0, s28
	s_mul_hi_u32 s31, s27, s14
	s_add_u32 s19, s29, s19
	s_mul_i32 s14, s27, s14
	s_addc_u32 s19, s28, s33
	s_addc_u32 s28, s31, 0
	s_add_u32 s14, s19, s14
	s_addc_u32 s19, 0, s28
	s_mul_i32 s31, s22, s14
	s_mul_hi_u32 s28, s22, s14
	s_mul_i32 s30, s22, s19
	v_sub_co_u32 v1, s26, s26, s31
	s_mul_i32 s29, s23, s14
	s_add_i32 s28, s28, s30
	s_delay_alu instid0(SALU_CYCLE_1) | instskip(NEXT) | instid1(VALU_DEP_1)
	s_add_i32 s28, s28, s29
	v_sub_co_u32 v2, s30, v1, s22
	s_sub_i32 s29, s27, s28
	s_cmp_lg_u32 s26, 0
	s_subb_u32 s29, s29, s23
	s_cmp_lg_u32 s30, 0
	v_readfirstlane_b32 s30, v2
	s_subb_u32 s29, s29, 0
	s_delay_alu instid0(SALU_CYCLE_1) | instskip(SKIP_1) | instid1(VALU_DEP_1)
	s_cmp_ge_u32 s29, s23
	s_cselect_b32 s31, -1, 0
	s_cmp_ge_u32 s30, s22
	s_cselect_b32 s30, -1, 0
	s_cmp_eq_u32 s29, s23
	s_cselect_b32 s29, s30, s31
	s_add_u32 s30, s14, 1
	s_addc_u32 s31, s19, 0
	s_add_u32 s33, s14, 2
	s_addc_u32 s34, s19, 0
	s_cmp_lg_u32 s29, 0
	s_cselect_b32 s29, s33, s30
	s_cselect_b32 s30, s34, s31
	s_cmp_lg_u32 s26, 0
	v_readfirstlane_b32 s26, v1
	s_subb_u32 s27, s27, s28
	s_delay_alu instid0(SALU_CYCLE_1) | instskip(SKIP_1) | instid1(VALU_DEP_1)
	s_cmp_ge_u32 s27, s23
	s_cselect_b32 s28, -1, 0
	s_cmp_ge_u32 s26, s22
	s_cselect_b32 s22, -1, 0
	s_cmp_eq_u32 s27, s23
	s_cselect_b32 s22, s22, s28
	s_delay_alu instid0(SALU_CYCLE_1) | instskip(SKIP_3) | instid1(SALU_CYCLE_1)
	s_cmp_lg_u32 s22, 0
	s_cselect_b32 s23, s30, s19
	s_cselect_b32 s22, s29, s14
	s_xor_b64 s[20:21], s[24:25], s[20:21]
	s_xor_b64 s[22:23], s[22:23], s[20:21]
	s_delay_alu instid0(SALU_CYCLE_1)
	s_sub_u32 s20, s22, s20
	s_subb_u32 s21, s23, s21
	s_and_not1_b32 vcc_lo, exec_lo, s18
	s_cbranch_vccnz .LBB35_6
.LBB35_5:
	v_cvt_f32_u32_e32 v1, s10
	s_sub_i32 s18, 0, s10
	s_mov_b32 s21, 0
	s_delay_alu instid0(VALU_DEP_1) | instskip(SKIP_2) | instid1(VALU_DEP_1)
	v_rcp_iflag_f32_e32 v1, v1
	s_waitcnt_depctr 0xfff
	v_mul_f32_e32 v1, 0x4f7ffffe, v1
	v_cvt_u32_f32_e32 v1, v1
	s_delay_alu instid0(VALU_DEP_1) | instskip(NEXT) | instid1(VALU_DEP_1)
	v_readfirstlane_b32 s14, v1
	s_mul_i32 s18, s18, s14
	s_delay_alu instid0(SALU_CYCLE_1) | instskip(NEXT) | instid1(SALU_CYCLE_1)
	s_mul_hi_u32 s18, s14, s18
	s_add_i32 s14, s14, s18
	s_delay_alu instid0(SALU_CYCLE_1) | instskip(NEXT) | instid1(SALU_CYCLE_1)
	s_mul_hi_u32 s14, s16, s14
	s_mul_i32 s18, s14, s10
	s_add_i32 s19, s14, 1
	s_sub_i32 s18, s16, s18
	s_delay_alu instid0(SALU_CYCLE_1)
	s_sub_i32 s20, s18, s10
	s_cmp_ge_u32 s18, s10
	s_cselect_b32 s14, s19, s14
	s_cselect_b32 s18, s20, s18
	s_add_i32 s19, s14, 1
	s_cmp_ge_u32 s18, s10
	s_cselect_b32 s20, s19, s14
.LBB35_6:
	s_delay_alu instid0(SALU_CYCLE_1)
	s_mul_i32 s11, s20, s11
	s_mul_hi_u32 s14, s20, s10
	s_mul_i32 s9, s2, s9
	s_add_i32 s11, s14, s11
	s_mul_i32 s14, s21, s10
	s_mul_i32 s10, s20, s10
	s_add_i32 s11, s11, s14
	s_sub_u32 s14, s16, s10
	s_subb_u32 s16, s17, s11
	s_mul_hi_u32 s17, s2, s8
	s_bfe_i64 s[10:11], s[2:3], 0x200000
	s_add_i32 s3, s17, s9
	s_mul_i32 s9, s11, s8
	s_mul_i32 s2, s2, s8
	s_add_i32 s3, s3, s9
	s_mul_i32 s7, s20, s7
	s_lshl_b64 s[8:9], s[2:3], 1
	s_mul_hi_u32 s17, s20, s6
	s_waitcnt lgkmcnt(0)
	s_add_u32 s10, s12, s8
	s_addc_u32 s11, s13, s9
	s_bfe_i64 s[2:3], s[20:21], 0x200000
	s_add_i32 s2, s17, s7
	s_mul_i32 s3, s3, s6
	s_load_b32 s17, s[0:1], 0x5c
	s_add_i32 s3, s2, s3
	s_mul_i32 s2, s20, s6
	s_mul_i32 s5, s14, s5
	s_lshl_b64 s[6:7], s[2:3], 1
	s_load_b32 s3, s[0:1], 0x48
	s_add_u32 s2, s10, s6
	s_mul_hi_u32 s10, s14, s4
	s_addc_u32 s11, s11, s7
	s_add_i32 s5, s10, s5
	s_mul_i32 s16, s16, s4
	s_mul_i32 s4, s14, s4
	s_add_i32 s5, s5, s16
	s_delay_alu instid0(SALU_CYCLE_1) | instskip(NEXT) | instid1(SALU_CYCLE_1)
	s_lshl_b64 s[4:5], s[4:5], 1
	s_add_u32 s14, s2, s4
	s_addc_u32 s16, s11, s5
	s_and_b32 s10, s14, 31
	s_mov_b32 s11, 0
	s_waitcnt lgkmcnt(0)
	s_and_b32 s17, s17, 0xffff
	s_cmp_lg_u64 s[10:11], 0
	s_cselect_b32 s2, -1, 0
	s_and_b32 s10, s3, 15
	s_delay_alu instid0(SALU_CYCLE_1) | instskip(SKIP_1) | instid1(SALU_CYCLE_1)
	s_cmp_lg_u32 s10, 0
	s_cselect_b32 s10, -1, 0
	s_or_b32 s2, s10, s2
	s_delay_alu instid0(SALU_CYCLE_1)
	s_and_b32 vcc_lo, exec_lo, s2
	s_cbranch_vccz .LBB35_20
; %bb.7:
	s_sub_i32 s2, 0, s14
	v_mov_b32_e32 v4, 0
	s_bfe_u32 s2, s2, 0x40001
	s_mov_b32 s11, exec_lo
	s_min_i32 s10, s2, s3
	s_delay_alu instid0(SALU_CYCLE_1)
	v_cmpx_gt_i32_e64 s10, v0
	s_cbranch_execz .LBB35_11
; %bb.8:
	s_add_u32 s2, s4, s8
	s_addc_u32 s18, s5, s9
	v_dual_mov_b32 v4, 0 :: v_dual_lshlrev_b32 v1, 1, v0
	s_add_u32 s2, s2, s6
	s_addc_u32 s18, s18, s7
	s_add_u32 s2, s12, s2
	s_addc_u32 s18, s13, s18
	v_add_co_u32 v1, s2, s2, v1
	s_delay_alu instid0(VALU_DEP_1)
	v_add_co_ci_u32_e64 v2, null, s18, 0, s2
	v_mov_b32_e32 v3, v0
	s_mov_b32 s18, 0
	s_lshl_b32 s19, s17, 1
.LBB35_9:                               ; =>This Inner Loop Header: Depth=1
	global_load_u16 v5, v[1:2], off
	v_add_nc_u32_e32 v3, s17, v3
	v_add_co_u32 v1, vcc_lo, v1, s19
	v_add_co_ci_u32_e32 v2, vcc_lo, 0, v2, vcc_lo
	s_delay_alu instid0(VALU_DEP_3) | instskip(NEXT) | instid1(VALU_DEP_1)
	v_cmp_le_i32_e64 s2, s10, v3
	s_or_b32 s18, s2, s18
	s_waitcnt vmcnt(0)
	v_fma_mix_f32 v4, v5, v5, v4 op_sel_hi:[1,1,0]
	s_and_not1_b32 exec_lo, exec_lo, s18
	s_cbranch_execnz .LBB35_9
; %bb.10:
	s_or_b32 exec_lo, exec_lo, s18
.LBB35_11:
	s_delay_alu instid0(SALU_CYCLE_1)
	s_or_b32 exec_lo, exec_lo, s11
	s_sub_i32 s18, s3, s10
	s_ashr_i32 s11, s10, 31
	s_ashr_i32 s2, s18, 31
	s_mov_b32 s20, exec_lo
	s_lshr_b32 s2, s2, 28
	s_delay_alu instid0(SALU_CYCLE_1) | instskip(NEXT) | instid1(SALU_CYCLE_1)
	s_add_i32 s2, s18, s2
	s_ashr_i32 s19, s2, 4
	s_delay_alu instid0(SALU_CYCLE_1)
	v_cmpx_gt_i32_e64 s19, v0
	s_cbranch_execz .LBB35_15
; %bb.12:
	s_add_u32 s2, s4, s8
	s_addc_u32 s21, s5, s9
	s_add_u32 s2, s2, s6
	s_addc_u32 s21, s21, s7
	s_lshl_b64 s[22:23], s[10:11], 1
	v_lshlrev_b32_e32 v1, 5, v0
	s_add_u32 s22, s12, s22
	s_addc_u32 s23, s13, s23
	s_add_u32 s2, s22, s2
	s_addc_u32 s21, s23, s21
	v_add_co_u32 v1, s2, s2, v1
	s_delay_alu instid0(VALU_DEP_1)
	v_add_co_ci_u32_e64 v2, null, s21, 0, s2
	v_mov_b32_e32 v3, v0
	s_mov_b32 s21, 0
	s_lshl_b32 s22, s17, 5
	s_set_inst_prefetch_distance 0x1
	.p2align	6
.LBB35_13:                              ; =>This Inner Loop Header: Depth=1
	s_clause 0x1
	global_load_b128 v[5:8], v[1:2], off
	global_load_b128 v[9:12], v[1:2], off offset:16
	v_add_nc_u32_e32 v3, s17, v3
	v_add_co_u32 v1, vcc_lo, v1, s22
	v_add_co_ci_u32_e32 v2, vcc_lo, 0, v2, vcc_lo
	s_delay_alu instid0(VALU_DEP_3) | instskip(NEXT) | instid1(VALU_DEP_1)
	v_cmp_le_i32_e64 s2, s19, v3
	s_or_b32 s21, s2, s21
	s_waitcnt vmcnt(1)
	v_fma_mix_f32 v4, v5, v5, v4 op_sel_hi:[1,1,0]
	s_delay_alu instid0(VALU_DEP_1) | instskip(NEXT) | instid1(VALU_DEP_1)
	v_fma_mix_f32 v4, v5, v5, v4 op_sel:[1,1,0] op_sel_hi:[1,1,0]
	v_fma_mix_f32 v4, v6, v6, v4 op_sel_hi:[1,1,0]
	s_delay_alu instid0(VALU_DEP_1) | instskip(NEXT) | instid1(VALU_DEP_1)
	v_fma_mix_f32 v4, v6, v6, v4 op_sel:[1,1,0] op_sel_hi:[1,1,0]
	;; [unrolled: 3-line block ×3, first 2 shown]
	v_fma_mix_f32 v4, v8, v8, v4 op_sel_hi:[1,1,0]
	s_delay_alu instid0(VALU_DEP_1) | instskip(SKIP_1) | instid1(VALU_DEP_1)
	v_fma_mix_f32 v4, v8, v8, v4 op_sel:[1,1,0] op_sel_hi:[1,1,0]
	s_waitcnt vmcnt(0)
	v_fma_mix_f32 v4, v9, v9, v4 op_sel_hi:[1,1,0]
	s_delay_alu instid0(VALU_DEP_1) | instskip(NEXT) | instid1(VALU_DEP_1)
	v_fma_mix_f32 v4, v9, v9, v4 op_sel:[1,1,0] op_sel_hi:[1,1,0]
	v_fma_mix_f32 v4, v10, v10, v4 op_sel_hi:[1,1,0]
	s_delay_alu instid0(VALU_DEP_1) | instskip(NEXT) | instid1(VALU_DEP_1)
	v_fma_mix_f32 v4, v10, v10, v4 op_sel:[1,1,0] op_sel_hi:[1,1,0]
	;; [unrolled: 3-line block ×3, first 2 shown]
	v_fma_mix_f32 v4, v12, v12, v4 op_sel_hi:[1,1,0]
	s_delay_alu instid0(VALU_DEP_1)
	v_fma_mix_f32 v4, v12, v12, v4 op_sel:[1,1,0] op_sel_hi:[1,1,0]
	s_and_not1_b32 exec_lo, exec_lo, s21
	s_cbranch_execnz .LBB35_13
; %bb.14:
	s_set_inst_prefetch_distance 0x2
	s_or_b32 exec_lo, exec_lo, s21
.LBB35_15:
	s_delay_alu instid0(SALU_CYCLE_1) | instskip(SKIP_2) | instid1(VALU_DEP_1)
	s_or_b32 exec_lo, exec_lo, s20
	v_lshl_add_u32 v1, s19, 4, v0
	s_mov_b32 s19, exec_lo
	v_cmpx_gt_i32_e64 s18, v1
	s_cbranch_execz .LBB35_19
; %bb.16:
	v_ashrrev_i32_e32 v2, 31, v1
	s_add_u32 s2, s4, s8
	s_addc_u32 s20, s5, s9
	s_add_u32 s2, s2, s6
	s_addc_u32 s20, s20, s7
	s_lshl_b64 s[10:11], s[10:11], 1
	v_lshlrev_b64 v[2:3], 1, v[1:2]
	s_add_u32 s2, s2, s10
	s_addc_u32 s10, s20, s11
	s_add_u32 s2, s12, s2
	s_addc_u32 s10, s13, s10
	s_lshl_b32 s11, s17, 1
	v_add_co_u32 v2, vcc_lo, s2, v2
	v_add_co_ci_u32_e32 v3, vcc_lo, s10, v3, vcc_lo
	s_mov_b32 s10, 0
.LBB35_17:                              ; =>This Inner Loop Header: Depth=1
	global_load_u16 v5, v[2:3], off
	v_add_nc_u32_e32 v1, s17, v1
	v_add_co_u32 v2, vcc_lo, v2, s11
	v_add_co_ci_u32_e32 v3, vcc_lo, 0, v3, vcc_lo
	s_delay_alu instid0(VALU_DEP_3) | instskip(NEXT) | instid1(VALU_DEP_1)
	v_cmp_le_i32_e64 s2, s18, v1
	s_or_b32 s10, s2, s10
	s_waitcnt vmcnt(0)
	v_fma_mix_f32 v4, v5, v5, v4 op_sel_hi:[1,1,0]
	s_and_not1_b32 exec_lo, exec_lo, s10
	s_cbranch_execnz .LBB35_17
; %bb.18:
	s_or_b32 exec_lo, exec_lo, s10
.LBB35_19:
	s_delay_alu instid0(SALU_CYCLE_1)
	s_or_b32 exec_lo, exec_lo, s19
	s_branch .LBB35_26
.LBB35_20:
                                        ; implicit-def: $vgpr4
	s_cbranch_execz .LBB35_26
; %bb.21:
	v_mov_b32_e32 v4, 0
	s_ashr_i32 s11, s3, 4
	s_mov_b32 s10, exec_lo
	v_cmpx_gt_i32_e64 s11, v0
	s_cbranch_execz .LBB35_25
; %bb.22:
	s_add_u32 s2, s4, s8
	s_addc_u32 s4, s5, s9
	v_dual_mov_b32 v4, 0 :: v_dual_lshlrev_b32 v1, 5, v0
	s_add_u32 s2, s2, s6
	s_addc_u32 s4, s4, s7
	s_add_u32 s2, s12, s2
	s_addc_u32 s4, s13, s4
	v_add_co_u32 v1, s2, s2, v1
	s_delay_alu instid0(VALU_DEP_1)
	v_add_co_ci_u32_e64 v2, null, s4, 0, s2
	v_mov_b32_e32 v3, v0
	s_mov_b32 s4, 0
	s_lshl_b32 s5, s17, 5
	s_set_inst_prefetch_distance 0x1
	.p2align	6
.LBB35_23:                              ; =>This Inner Loop Header: Depth=1
	s_clause 0x1
	global_load_b128 v[5:8], v[1:2], off
	global_load_b128 v[9:12], v[1:2], off offset:16
	v_add_nc_u32_e32 v3, s17, v3
	v_add_co_u32 v1, vcc_lo, v1, s5
	v_add_co_ci_u32_e32 v2, vcc_lo, 0, v2, vcc_lo
	s_delay_alu instid0(VALU_DEP_3) | instskip(NEXT) | instid1(VALU_DEP_1)
	v_cmp_le_i32_e64 s2, s11, v3
	s_or_b32 s4, s2, s4
	s_waitcnt vmcnt(1)
	v_fma_mix_f32 v4, v5, v5, v4 op_sel_hi:[1,1,0]
	s_delay_alu instid0(VALU_DEP_1) | instskip(NEXT) | instid1(VALU_DEP_1)
	v_fma_mix_f32 v4, v5, v5, v4 op_sel:[1,1,0] op_sel_hi:[1,1,0]
	v_fma_mix_f32 v4, v6, v6, v4 op_sel_hi:[1,1,0]
	s_delay_alu instid0(VALU_DEP_1) | instskip(NEXT) | instid1(VALU_DEP_1)
	v_fma_mix_f32 v4, v6, v6, v4 op_sel:[1,1,0] op_sel_hi:[1,1,0]
	;; [unrolled: 3-line block ×3, first 2 shown]
	v_fma_mix_f32 v4, v8, v8, v4 op_sel_hi:[1,1,0]
	s_delay_alu instid0(VALU_DEP_1) | instskip(SKIP_1) | instid1(VALU_DEP_1)
	v_fma_mix_f32 v4, v8, v8, v4 op_sel:[1,1,0] op_sel_hi:[1,1,0]
	s_waitcnt vmcnt(0)
	v_fma_mix_f32 v4, v9, v9, v4 op_sel_hi:[1,1,0]
	s_delay_alu instid0(VALU_DEP_1) | instskip(NEXT) | instid1(VALU_DEP_1)
	v_fma_mix_f32 v4, v9, v9, v4 op_sel:[1,1,0] op_sel_hi:[1,1,0]
	v_fma_mix_f32 v4, v10, v10, v4 op_sel_hi:[1,1,0]
	s_delay_alu instid0(VALU_DEP_1) | instskip(NEXT) | instid1(VALU_DEP_1)
	v_fma_mix_f32 v4, v10, v10, v4 op_sel:[1,1,0] op_sel_hi:[1,1,0]
	;; [unrolled: 3-line block ×3, first 2 shown]
	v_fma_mix_f32 v4, v12, v12, v4 op_sel_hi:[1,1,0]
	s_delay_alu instid0(VALU_DEP_1)
	v_fma_mix_f32 v4, v12, v12, v4 op_sel:[1,1,0] op_sel_hi:[1,1,0]
	s_and_not1_b32 exec_lo, exec_lo, s4
	s_cbranch_execnz .LBB35_23
; %bb.24:
	s_set_inst_prefetch_distance 0x2
	s_or_b32 exec_lo, exec_lo, s4
.LBB35_25:
	s_delay_alu instid0(SALU_CYCLE_1)
	s_or_b32 exec_lo, exec_lo, s10
.LBB35_26:
	v_mbcnt_lo_u32_b32 v1, -1, 0
	v_and_b32_e32 v3, 0x3e0, v0
	s_mov_b32 s2, exec_lo
	s_delay_alu instid0(VALU_DEP_2) | instskip(NEXT) | instid1(VALU_DEP_2)
	v_cmp_ne_u32_e32 vcc_lo, 31, v1
	v_sub_nc_u32_e64 v12, s17, v3 clamp
	v_add_nc_u32_e32 v3, 1, v1
	v_add_co_ci_u32_e32 v2, vcc_lo, 0, v1, vcc_lo
	v_cmp_gt_u32_e32 vcc_lo, 30, v1
	s_delay_alu instid0(VALU_DEP_2)
	v_lshlrev_b32_e32 v2, 2, v2
	v_cndmask_b32_e64 v6, 0, 1, vcc_lo
	v_cmp_lt_u32_e32 vcc_lo, v3, v12
	ds_bpermute_b32 v5, v2, v4
	s_waitcnt lgkmcnt(0)
	v_dual_add_f32 v7, v4, v5 :: v_dual_lshlrev_b32 v6, 1, v6
	s_delay_alu instid0(VALU_DEP_1) | instskip(NEXT) | instid1(VALU_DEP_2)
	v_cndmask_b32_e32 v7, v4, v7, vcc_lo
	v_add_lshl_u32 v5, v6, v1, 2
	v_cmp_gt_u32_e32 vcc_lo, 28, v1
	ds_bpermute_b32 v6, v5, v7
	v_cndmask_b32_e64 v4, 0, 1, vcc_lo
	s_delay_alu instid0(VALU_DEP_1) | instskip(SKIP_1) | instid1(VALU_DEP_1)
	v_lshlrev_b32_e32 v8, 2, v4
	v_add_nc_u32_e32 v4, 2, v1
	v_cmp_lt_u32_e32 vcc_lo, v4, v12
	s_waitcnt lgkmcnt(0)
	v_add_f32_e32 v9, v7, v6
	v_add_lshl_u32 v6, v8, v1, 2
	s_delay_alu instid0(VALU_DEP_2) | instskip(SKIP_2) | instid1(VALU_DEP_1)
	v_cndmask_b32_e32 v9, v7, v9, vcc_lo
	v_cmp_gt_u32_e32 vcc_lo, 24, v1
	v_cndmask_b32_e64 v7, 0, 1, vcc_lo
	v_lshlrev_b32_e32 v10, 3, v7
	ds_bpermute_b32 v8, v6, v9
	v_add_nc_u32_e32 v7, 4, v1
	s_delay_alu instid0(VALU_DEP_1) | instskip(SKIP_3) | instid1(VALU_DEP_2)
	v_cmp_lt_u32_e32 vcc_lo, v7, v12
	s_waitcnt lgkmcnt(0)
	v_add_f32_e32 v11, v9, v8
	v_add_lshl_u32 v8, v10, v1, 2
	v_cndmask_b32_e32 v11, v9, v11, vcc_lo
	v_cmp_gt_u32_e32 vcc_lo, 16, v1
	ds_bpermute_b32 v10, v8, v11
	v_cndmask_b32_e64 v9, 0, 1, vcc_lo
	s_delay_alu instid0(VALU_DEP_1) | instskip(SKIP_1) | instid1(VALU_DEP_1)
	v_lshlrev_b32_e32 v13, 4, v9
	v_add_nc_u32_e32 v9, 8, v1
	v_cmp_lt_u32_e32 vcc_lo, v9, v12
	s_waitcnt lgkmcnt(0)
	v_add_f32_e32 v14, v11, v10
	v_add_lshl_u32 v10, v13, v1, 2
	s_delay_alu instid0(VALU_DEP_2)
	v_cndmask_b32_e32 v13, v11, v14, vcc_lo
	v_add_nc_u32_e32 v11, 16, v1
	ds_bpermute_b32 v14, v10, v13
	v_cmp_lt_u32_e32 vcc_lo, v11, v12
	s_waitcnt lgkmcnt(0)
	v_add_f32_e32 v14, v13, v14
	s_delay_alu instid0(VALU_DEP_1)
	v_cndmask_b32_e32 v12, v13, v14, vcc_lo
	v_cmpx_eq_u32_e32 0, v1
	s_cbranch_execz .LBB35_28
; %bb.27:
	v_lshrrev_b32_e32 v13, 3, v0
	s_delay_alu instid0(VALU_DEP_1)
	v_and_b32_e32 v13, 0x7c, v13
	ds_store_b32 v13, v12
.LBB35_28:
	s_or_b32 exec_lo, exec_lo, s2
	s_delay_alu instid0(SALU_CYCLE_1)
	s_mov_b32 s2, exec_lo
	s_waitcnt lgkmcnt(0)
	s_barrier
	buffer_gl0_inv
	v_cmpx_gt_u32_e32 32, v0
	s_cbranch_execz .LBB35_30
; %bb.29:
	v_lshlrev_b32_e32 v1, 2, v1
	s_add_i32 s4, s17, 31
	s_delay_alu instid0(SALU_CYCLE_1) | instskip(NEXT) | instid1(SALU_CYCLE_1)
	s_lshr_b32 s4, s4, 5
	v_cmp_gt_u32_e32 vcc_lo, s4, v3
	ds_load_b32 v1, v1
	s_waitcnt lgkmcnt(0)
	ds_bpermute_b32 v2, v2, v1
	s_waitcnt lgkmcnt(0)
	v_add_f32_e32 v2, v1, v2
	s_delay_alu instid0(VALU_DEP_1) | instskip(SKIP_4) | instid1(VALU_DEP_1)
	v_cndmask_b32_e32 v1, v1, v2, vcc_lo
	v_cmp_gt_u32_e32 vcc_lo, s4, v4
	ds_bpermute_b32 v2, v5, v1
	s_waitcnt lgkmcnt(0)
	v_add_f32_e32 v2, v1, v2
	v_cndmask_b32_e32 v1, v1, v2, vcc_lo
	v_cmp_gt_u32_e32 vcc_lo, s4, v7
	ds_bpermute_b32 v2, v6, v1
	s_waitcnt lgkmcnt(0)
	v_add_f32_e32 v2, v1, v2
	s_delay_alu instid0(VALU_DEP_1) | instskip(SKIP_4) | instid1(VALU_DEP_1)
	v_cndmask_b32_e32 v1, v1, v2, vcc_lo
	v_cmp_gt_u32_e32 vcc_lo, s4, v9
	ds_bpermute_b32 v2, v8, v1
	s_waitcnt lgkmcnt(0)
	v_add_f32_e32 v2, v1, v2
	v_cndmask_b32_e32 v1, v1, v2, vcc_lo
	v_cmp_gt_u32_e32 vcc_lo, s4, v11
	ds_bpermute_b32 v2, v10, v1
	s_waitcnt lgkmcnt(0)
	v_add_f32_e32 v2, v1, v2
	s_delay_alu instid0(VALU_DEP_1)
	v_cndmask_b32_e32 v12, v1, v2, vcc_lo
.LBB35_30:
	s_or_b32 exec_lo, exec_lo, s2
	s_delay_alu instid0(SALU_CYCLE_1)
	s_mov_b32 s2, exec_lo
	v_cmpx_eq_u32_e32 0, v0
	s_cbranch_execz .LBB35_32
; %bb.31:
	v_cvt_f32_i32_e32 v1, s3
	s_load_b32 s4, s[0:1], 0x40
	s_delay_alu instid0(VALU_DEP_1) | instskip(SKIP_1) | instid1(VALU_DEP_2)
	v_div_scale_f32 v2, null, v1, v1, v12
	v_div_scale_f32 v5, vcc_lo, v12, v1, v12
	v_rcp_f32_e32 v3, v2
	s_waitcnt_depctr 0xfff
	v_fma_f32 v4, -v2, v3, 1.0
	s_delay_alu instid0(VALU_DEP_1) | instskip(NEXT) | instid1(VALU_DEP_1)
	v_fmac_f32_e32 v3, v4, v3
	v_mul_f32_e32 v4, v5, v3
	s_delay_alu instid0(VALU_DEP_1) | instskip(NEXT) | instid1(VALU_DEP_1)
	v_fma_f32 v6, -v2, v4, v5
	v_fmac_f32_e32 v4, v6, v3
	s_delay_alu instid0(VALU_DEP_1) | instskip(NEXT) | instid1(VALU_DEP_1)
	v_fma_f32 v2, -v2, v4, v5
	v_div_fmas_f32 v2, v2, v3, v4
	s_delay_alu instid0(VALU_DEP_1) | instskip(SKIP_1) | instid1(VALU_DEP_1)
	v_div_fixup_f32 v1, v2, v1, v12
	s_waitcnt lgkmcnt(0)
	v_add_f32_e32 v1, s4, v1
	s_delay_alu instid0(VALU_DEP_1) | instskip(SKIP_1) | instid1(VALU_DEP_2)
	v_mul_f32_e32 v2, 0x4b800000, v1
	v_cmp_gt_f32_e32 vcc_lo, 0x800000, v1
	v_cndmask_b32_e32 v1, v1, v2, vcc_lo
	s_delay_alu instid0(VALU_DEP_1) | instskip(SKIP_2) | instid1(VALU_DEP_1)
	v_rsq_f32_e32 v1, v1
	s_waitcnt_depctr 0xfff
	v_mul_f32_e32 v2, 0x45800000, v1
	v_dual_cndmask_b32 v1, v1, v2 :: v_dual_mov_b32 v2, 0
	ds_store_b32 v2, v1 offset:128
.LBB35_32:
	s_or_b32 exec_lo, exec_lo, s2
	s_ashr_i32 s2, s3, 31
	s_waitcnt lgkmcnt(0)
	s_lshr_b32 s2, s2, 28
	s_barrier
	s_add_i32 s2, s3, s2
	buffer_gl0_inv
	s_ashr_i32 s4, s2, 4
	s_mov_b32 s2, exec_lo
	v_cmpx_gt_i32_e64 s4, v0
	s_cbranch_execz .LBB35_35
; %bb.33:
	v_dual_mov_b32 v1, 0 :: v_dual_lshlrev_b32 v2, 5, v0
	s_clause 0x1
	s_load_b64 s[6:7], s[0:1], 0x0
	s_load_b64 s[0:1], s[0:1], 0x38
	s_mul_i32 s2, s15, s3
	s_mov_b32 s3, 0
	ds_load_b32 v1, v1 offset:128
	s_lshl_b64 s[8:9], s[2:3], 1
	s_waitcnt lgkmcnt(0)
	s_add_u32 s2, s6, s8
	s_addc_u32 s5, s7, s9
	s_lshl_b32 s6, s17, 5
.LBB35_34:                              ; =>This Inner Loop Header: Depth=1
	v_add_co_u32 v7, s7, s14, v2
	s_delay_alu instid0(VALU_DEP_1) | instskip(SKIP_1) | instid1(VALU_DEP_1)
	v_add_co_ci_u32_e64 v8, null, s16, 0, s7
	v_add_co_u32 v15, s7, s0, v2
	v_add_co_ci_u32_e64 v16, null, s1, 0, s7
	s_clause 0x1
	global_load_b128 v[3:6], v[7:8], off
	global_load_b128 v[7:10], v[7:8], off offset:16
	s_clause 0x1
	global_load_b128 v[11:14], v[15:16], off
	global_load_b128 v[15:18], v[15:16], off offset:16
	v_add_nc_u32_e32 v0, s17, v0
	v_add_co_u32 v19, s7, s2, v2
	s_add_u32 s2, s2, s6
	v_add_co_ci_u32_e64 v20, null, s5, 0, s7
	s_addc_u32 s5, s5, 0
	v_cmp_le_i32_e32 vcc_lo, s4, v0
	s_add_u32 s14, s14, s6
	s_addc_u32 s16, s16, 0
	s_add_u32 s0, s0, s6
	s_addc_u32 s1, s1, 0
	s_or_b32 s3, vcc_lo, s3
	s_waitcnt vmcnt(3)
	v_fma_mixlo_f16 v21, v1, v3, 0 op_sel_hi:[0,1,0]
	v_fma_mixlo_f16 v22, v1, v4, 0 op_sel_hi:[0,1,0]
	v_fma_mixlo_f16 v23, v1, v5, 0 op_sel_hi:[0,1,0]
	v_fma_mixlo_f16 v24, v1, v6, 0 op_sel_hi:[0,1,0]
	s_waitcnt vmcnt(2)
	v_fma_mixlo_f16 v25, v1, v7, 0 op_sel_hi:[0,1,0]
	v_fma_mixlo_f16 v26, v1, v8, 0 op_sel_hi:[0,1,0]
	;; [unrolled: 1-line block ×4, first 2 shown]
	v_fma_mixhi_f16 v21, v1, v3, 0 op_sel:[0,1,0] op_sel_hi:[0,1,0]
	v_fma_mixhi_f16 v22, v1, v4, 0 op_sel:[0,1,0] op_sel_hi:[0,1,0]
	;; [unrolled: 1-line block ×8, first 2 shown]
	s_waitcnt vmcnt(1)
	v_pk_mul_f16 v3, v11, v21
	v_pk_mul_f16 v4, v12, v22
	;; [unrolled: 1-line block ×4, first 2 shown]
	s_waitcnt vmcnt(0)
	v_pk_mul_f16 v7, v15, v25
	v_pk_mul_f16 v8, v16, v26
	;; [unrolled: 1-line block ×4, first 2 shown]
	s_clause 0x1
	global_store_b128 v[19:20], v[3:6], off
	global_store_b128 v[19:20], v[7:10], off offset:16
	s_and_not1_b32 exec_lo, exec_lo, s3
	s_cbranch_execnz .LBB35_34
.LBB35_35:
	s_nop 0
	s_sendmsg sendmsg(MSG_DEALLOC_VGPRS)
	s_endpgm
.LBB35_36:
                                        ; implicit-def: $sgpr2_sgpr3
	s_branch .LBB35_2
.LBB35_37:
                                        ; implicit-def: $sgpr20_sgpr21
	s_branch .LBB35_5
	.section	.rodata,"a",@progbits
	.p2align	6, 0x0
	.amdhsa_kernel _ZN4vllm15rms_norm_kernelIN3c104HalfELi16ELi4EEEvPT_PKS3_lllllS6_fii
		.amdhsa_group_segment_fixed_size 132
		.amdhsa_private_segment_fixed_size 0
		.amdhsa_kernarg_size 336
		.amdhsa_user_sgpr_count 15
		.amdhsa_user_sgpr_dispatch_ptr 0
		.amdhsa_user_sgpr_queue_ptr 0
		.amdhsa_user_sgpr_kernarg_segment_ptr 1
		.amdhsa_user_sgpr_dispatch_id 0
		.amdhsa_user_sgpr_private_segment_size 0
		.amdhsa_wavefront_size32 1
		.amdhsa_uses_dynamic_stack 0
		.amdhsa_enable_private_segment 0
		.amdhsa_system_sgpr_workgroup_id_x 1
		.amdhsa_system_sgpr_workgroup_id_y 0
		.amdhsa_system_sgpr_workgroup_id_z 0
		.amdhsa_system_sgpr_workgroup_info 0
		.amdhsa_system_vgpr_workitem_id 0
		.amdhsa_next_free_vgpr 29
		.amdhsa_next_free_sgpr 35
		.amdhsa_reserve_vcc 1
		.amdhsa_float_round_mode_32 0
		.amdhsa_float_round_mode_16_64 0
		.amdhsa_float_denorm_mode_32 3
		.amdhsa_float_denorm_mode_16_64 3
		.amdhsa_dx10_clamp 1
		.amdhsa_ieee_mode 1
		.amdhsa_fp16_overflow 0
		.amdhsa_workgroup_processor_mode 1
		.amdhsa_memory_ordered 1
		.amdhsa_forward_progress 0
		.amdhsa_shared_vgpr_count 0
		.amdhsa_exception_fp_ieee_invalid_op 0
		.amdhsa_exception_fp_denorm_src 0
		.amdhsa_exception_fp_ieee_div_zero 0
		.amdhsa_exception_fp_ieee_overflow 0
		.amdhsa_exception_fp_ieee_underflow 0
		.amdhsa_exception_fp_ieee_inexact 0
		.amdhsa_exception_int_div_zero 0
	.end_amdhsa_kernel
	.section	.text._ZN4vllm15rms_norm_kernelIN3c104HalfELi16ELi4EEEvPT_PKS3_lllllS6_fii,"axG",@progbits,_ZN4vllm15rms_norm_kernelIN3c104HalfELi16ELi4EEEvPT_PKS3_lllllS6_fii,comdat
.Lfunc_end35:
	.size	_ZN4vllm15rms_norm_kernelIN3c104HalfELi16ELi4EEEvPT_PKS3_lllllS6_fii, .Lfunc_end35-_ZN4vllm15rms_norm_kernelIN3c104HalfELi16ELi4EEEvPT_PKS3_lllllS6_fii
                                        ; -- End function
	.section	.AMDGPU.csdata,"",@progbits
; Kernel info:
; codeLenInByte = 4072
; NumSgprs: 37
; NumVgprs: 29
; ScratchSize: 0
; MemoryBound: 0
; FloatMode: 240
; IeeeMode: 1
; LDSByteSize: 132 bytes/workgroup (compile time only)
; SGPRBlocks: 4
; VGPRBlocks: 3
; NumSGPRsForWavesPerEU: 37
; NumVGPRsForWavesPerEU: 29
; Occupancy: 16
; WaveLimiterHint : 0
; COMPUTE_PGM_RSRC2:SCRATCH_EN: 0
; COMPUTE_PGM_RSRC2:USER_SGPR: 15
; COMPUTE_PGM_RSRC2:TRAP_HANDLER: 0
; COMPUTE_PGM_RSRC2:TGID_X_EN: 1
; COMPUTE_PGM_RSRC2:TGID_Y_EN: 0
; COMPUTE_PGM_RSRC2:TGID_Z_EN: 0
; COMPUTE_PGM_RSRC2:TIDIG_COMP_CNT: 0
	.section	.text._ZN4vllm15rms_norm_kernelIN3c104HalfELi8ELi4EEEvPT_PKS3_lllllS6_fii,"axG",@progbits,_ZN4vllm15rms_norm_kernelIN3c104HalfELi8ELi4EEEvPT_PKS3_lllllS6_fii,comdat
	.protected	_ZN4vllm15rms_norm_kernelIN3c104HalfELi8ELi4EEEvPT_PKS3_lllllS6_fii ; -- Begin function _ZN4vllm15rms_norm_kernelIN3c104HalfELi8ELi4EEEvPT_PKS3_lllllS6_fii
	.globl	_ZN4vllm15rms_norm_kernelIN3c104HalfELi8ELi4EEEvPT_PKS3_lllllS6_fii
	.p2align	8
	.type	_ZN4vllm15rms_norm_kernelIN3c104HalfELi8ELi4EEEvPT_PKS3_lllllS6_fii,@function
_ZN4vllm15rms_norm_kernelIN3c104HalfELi8ELi4EEEvPT_PKS3_lllllS6_fii: ; @_ZN4vllm15rms_norm_kernelIN3c104HalfELi8ELi4EEEvPT_PKS3_lllllS6_fii
; %bb.0:
	s_clause 0x1
	s_load_b256 s[4:11], s[0:1], 0x10
	s_load_b64 s[2:3], s[0:1], 0x30
	s_waitcnt lgkmcnt(0)
	s_mul_i32 s12, s2, s11
	s_mul_hi_u32 s13, s2, s10
	s_mul_i32 s3, s3, s10
	s_add_i32 s13, s13, s12
	s_mov_b32 s12, 0
	s_add_i32 s13, s13, s3
	s_mul_i32 s14, s2, s10
	s_cmp_lg_u64 s[12:13], 0
	s_cbranch_scc0 .LBB36_36
; %bb.1:
	s_ashr_i32 s16, s13, 31
	s_delay_alu instid0(SALU_CYCLE_1) | instskip(SKIP_2) | instid1(SALU_CYCLE_1)
	s_add_u32 s2, s14, s16
	s_mov_b32 s17, s16
	s_addc_u32 s3, s13, s16
	s_xor_b64 s[2:3], s[2:3], s[16:17]
	s_delay_alu instid0(SALU_CYCLE_1) | instskip(SKIP_3) | instid1(VALU_DEP_1)
	v_cvt_f32_u32_e32 v1, s2
	v_cvt_f32_u32_e32 v2, s3
	s_sub_u32 s19, 0, s2
	s_subb_u32 s20, 0, s3
	v_fmamk_f32 v1, v2, 0x4f800000, v1
	s_delay_alu instid0(VALU_DEP_1) | instskip(SKIP_2) | instid1(VALU_DEP_1)
	v_rcp_f32_e32 v1, v1
	s_waitcnt_depctr 0xfff
	v_mul_f32_e32 v1, 0x5f7ffffc, v1
	v_mul_f32_e32 v2, 0x2f800000, v1
	s_delay_alu instid0(VALU_DEP_1) | instskip(NEXT) | instid1(VALU_DEP_1)
	v_trunc_f32_e32 v2, v2
	v_fmamk_f32 v1, v2, 0xcf800000, v1
	v_cvt_u32_f32_e32 v2, v2
	s_delay_alu instid0(VALU_DEP_2) | instskip(NEXT) | instid1(VALU_DEP_2)
	v_cvt_u32_f32_e32 v1, v1
	v_readfirstlane_b32 s13, v2
	s_delay_alu instid0(VALU_DEP_2) | instskip(NEXT) | instid1(VALU_DEP_2)
	v_readfirstlane_b32 s18, v1
	s_mul_i32 s21, s19, s13
	s_delay_alu instid0(VALU_DEP_1)
	s_mul_hi_u32 s23, s19, s18
	s_mul_i32 s22, s20, s18
	s_add_i32 s21, s23, s21
	s_mul_i32 s24, s19, s18
	s_add_i32 s21, s21, s22
	s_mul_hi_u32 s23, s18, s24
	s_mul_hi_u32 s25, s13, s24
	s_mul_i32 s22, s13, s24
	s_mul_hi_u32 s24, s18, s21
	s_mul_i32 s18, s18, s21
	s_mul_hi_u32 s26, s13, s21
	s_add_u32 s18, s23, s18
	s_addc_u32 s23, 0, s24
	s_add_u32 s18, s18, s22
	s_mul_i32 s21, s13, s21
	s_addc_u32 s18, s23, s25
	s_addc_u32 s22, s26, 0
	s_add_u32 s18, s18, s21
	s_addc_u32 s21, 0, s22
	v_add_co_u32 v1, s18, v1, s18
	s_delay_alu instid0(VALU_DEP_1) | instskip(SKIP_1) | instid1(VALU_DEP_1)
	s_cmp_lg_u32 s18, 0
	s_addc_u32 s13, s13, s21
	v_readfirstlane_b32 s18, v1
	s_mul_i32 s21, s19, s13
	s_delay_alu instid0(VALU_DEP_1)
	s_mul_hi_u32 s22, s19, s18
	s_mul_i32 s20, s20, s18
	s_add_i32 s21, s22, s21
	s_mul_i32 s19, s19, s18
	s_add_i32 s21, s21, s20
	s_mul_hi_u32 s22, s13, s19
	s_mul_i32 s23, s13, s19
	s_mul_hi_u32 s19, s18, s19
	s_mul_hi_u32 s24, s18, s21
	s_mul_i32 s18, s18, s21
	s_mul_hi_u32 s20, s13, s21
	s_add_u32 s18, s19, s18
	s_addc_u32 s19, 0, s24
	s_add_u32 s18, s18, s23
	s_mul_i32 s21, s13, s21
	s_addc_u32 s18, s19, s22
	s_addc_u32 s19, s20, 0
	s_add_u32 s18, s18, s21
	s_addc_u32 s19, 0, s19
	v_add_co_u32 v1, s18, v1, s18
	s_delay_alu instid0(VALU_DEP_1) | instskip(SKIP_1) | instid1(VALU_DEP_1)
	s_cmp_lg_u32 s18, 0
	s_addc_u32 s13, s13, s19
	v_readfirstlane_b32 s18, v1
	s_mul_i32 s19, s15, s13
	s_mul_hi_u32 s13, s15, s13
	s_delay_alu instid0(VALU_DEP_1) | instskip(NEXT) | instid1(SALU_CYCLE_1)
	s_mul_hi_u32 s18, s15, s18
	s_add_u32 s18, s18, s19
	s_addc_u32 s13, 0, s13
	s_add_u32 s18, s18, 0
	s_addc_u32 s13, s13, 0
	s_addc_u32 s18, 0, 0
	s_add_u32 s13, s13, 0
	s_addc_u32 s18, 0, s18
	s_mul_hi_u32 s19, s2, s13
	s_mul_i32 s21, s2, s18
	s_mul_i32 s22, s2, s13
	s_add_i32 s19, s19, s21
	v_sub_co_u32 v1, s21, s15, s22
	s_mul_i32 s20, s3, s13
	s_delay_alu instid0(SALU_CYCLE_1) | instskip(NEXT) | instid1(VALU_DEP_1)
	s_add_i32 s19, s19, s20
	v_sub_co_u32 v2, s22, v1, s2
	s_sub_i32 s20, 0, s19
	s_cmp_lg_u32 s21, 0
	s_subb_u32 s20, s20, s3
	s_cmp_lg_u32 s22, 0
	v_readfirstlane_b32 s22, v2
	s_subb_u32 s20, s20, 0
	s_delay_alu instid0(SALU_CYCLE_1) | instskip(SKIP_1) | instid1(VALU_DEP_1)
	s_cmp_ge_u32 s20, s3
	s_cselect_b32 s23, -1, 0
	s_cmp_ge_u32 s22, s2
	s_cselect_b32 s22, -1, 0
	s_cmp_eq_u32 s20, s3
	s_cselect_b32 s20, s22, s23
	s_add_u32 s22, s13, 1
	s_addc_u32 s23, s18, 0
	s_add_u32 s24, s13, 2
	s_addc_u32 s25, s18, 0
	s_cmp_lg_u32 s20, 0
	s_cselect_b32 s20, s24, s22
	s_cselect_b32 s22, s25, s23
	s_cmp_lg_u32 s21, 0
	v_readfirstlane_b32 s21, v1
	s_subb_u32 s19, 0, s19
	s_delay_alu instid0(SALU_CYCLE_1) | instskip(SKIP_1) | instid1(VALU_DEP_1)
	s_cmp_ge_u32 s19, s3
	s_cselect_b32 s23, -1, 0
	s_cmp_ge_u32 s21, s2
	s_cselect_b32 s2, -1, 0
	s_cmp_eq_u32 s19, s3
	s_cselect_b32 s2, s2, s23
	s_delay_alu instid0(SALU_CYCLE_1) | instskip(SKIP_2) | instid1(SALU_CYCLE_1)
	s_cmp_lg_u32 s2, 0
	s_cselect_b32 s3, s22, s18
	s_cselect_b32 s2, s20, s13
	s_xor_b64 s[2:3], s[2:3], s[16:17]
	s_delay_alu instid0(SALU_CYCLE_1)
	s_sub_u32 s2, s2, s16
	s_subb_u32 s3, s3, s16
	s_and_not1_b32 vcc_lo, exec_lo, s12
	s_cbranch_vccnz .LBB36_3
.LBB36_2:
	v_cvt_f32_u32_e32 v1, s14
	s_sub_i32 s3, 0, s14
	s_delay_alu instid0(VALU_DEP_1) | instskip(SKIP_2) | instid1(VALU_DEP_1)
	v_rcp_iflag_f32_e32 v1, v1
	s_waitcnt_depctr 0xfff
	v_mul_f32_e32 v1, 0x4f7ffffe, v1
	v_cvt_u32_f32_e32 v1, v1
	s_delay_alu instid0(VALU_DEP_1) | instskip(NEXT) | instid1(VALU_DEP_1)
	v_readfirstlane_b32 s2, v1
	s_mul_i32 s3, s3, s2
	s_delay_alu instid0(SALU_CYCLE_1) | instskip(NEXT) | instid1(SALU_CYCLE_1)
	s_mul_hi_u32 s3, s2, s3
	s_add_i32 s2, s2, s3
	s_delay_alu instid0(SALU_CYCLE_1) | instskip(NEXT) | instid1(SALU_CYCLE_1)
	s_mul_hi_u32 s2, s15, s2
	s_mul_i32 s3, s2, s14
	s_add_i32 s12, s2, 1
	s_sub_i32 s3, s15, s3
	s_delay_alu instid0(SALU_CYCLE_1)
	s_sub_i32 s13, s3, s14
	s_cmp_ge_u32 s3, s14
	s_cselect_b32 s2, s12, s2
	s_cselect_b32 s3, s13, s3
	s_add_i32 s12, s2, 1
	s_cmp_ge_u32 s3, s14
	s_mov_b32 s3, 0
	s_cselect_b32 s2, s12, s2
.LBB36_3:
	s_load_b64 s[12:13], s[0:1], 0x8
	s_mul_i32 s14, s2, s14
	s_delay_alu instid0(SALU_CYCLE_1) | instskip(NEXT) | instid1(SALU_CYCLE_1)
	s_sub_i32 s16, s15, s14
	s_ashr_i32 s17, s16, 31
	s_delay_alu instid0(SALU_CYCLE_1) | instskip(SKIP_1) | instid1(SALU_CYCLE_1)
	s_or_b64 s[18:19], s[16:17], s[10:11]
	s_mov_b32 s18, 0
	s_cmp_lg_u64 s[18:19], 0
	s_cbranch_scc0 .LBB36_37
; %bb.4:
	s_ashr_i32 s20, s11, 31
	s_delay_alu instid0(SALU_CYCLE_1) | instskip(SKIP_2) | instid1(SALU_CYCLE_1)
	s_add_u32 s22, s10, s20
	s_mov_b32 s21, s20
	s_addc_u32 s23, s11, s20
	s_xor_b64 s[22:23], s[22:23], s[20:21]
	s_delay_alu instid0(SALU_CYCLE_1) | instskip(SKIP_3) | instid1(VALU_DEP_1)
	v_cvt_f32_u32_e32 v1, s22
	v_cvt_f32_u32_e32 v2, s23
	s_sub_u32 s25, 0, s22
	s_subb_u32 s26, 0, s23
	v_fmamk_f32 v1, v2, 0x4f800000, v1
	s_delay_alu instid0(VALU_DEP_1) | instskip(SKIP_2) | instid1(VALU_DEP_1)
	v_rcp_f32_e32 v1, v1
	s_waitcnt_depctr 0xfff
	v_mul_f32_e32 v1, 0x5f7ffffc, v1
	v_mul_f32_e32 v2, 0x2f800000, v1
	s_delay_alu instid0(VALU_DEP_1) | instskip(NEXT) | instid1(VALU_DEP_1)
	v_trunc_f32_e32 v2, v2
	v_fmamk_f32 v1, v2, 0xcf800000, v1
	v_cvt_u32_f32_e32 v2, v2
	s_delay_alu instid0(VALU_DEP_2) | instskip(NEXT) | instid1(VALU_DEP_2)
	v_cvt_u32_f32_e32 v1, v1
	v_readfirstlane_b32 s14, v2
	s_delay_alu instid0(VALU_DEP_2) | instskip(NEXT) | instid1(VALU_DEP_2)
	v_readfirstlane_b32 s19, v1
	s_mul_i32 s24, s25, s14
	s_delay_alu instid0(VALU_DEP_1)
	s_mul_hi_u32 s28, s25, s19
	s_mul_i32 s27, s26, s19
	s_add_i32 s24, s28, s24
	s_mul_i32 s29, s25, s19
	s_add_i32 s24, s24, s27
	s_mul_hi_u32 s28, s19, s29
	s_mul_hi_u32 s30, s14, s29
	s_mul_i32 s27, s14, s29
	s_mul_hi_u32 s29, s19, s24
	s_mul_i32 s19, s19, s24
	s_mul_hi_u32 s31, s14, s24
	s_add_u32 s19, s28, s19
	s_addc_u32 s28, 0, s29
	s_add_u32 s19, s19, s27
	s_mul_i32 s24, s14, s24
	s_addc_u32 s19, s28, s30
	s_addc_u32 s27, s31, 0
	s_add_u32 s19, s19, s24
	s_addc_u32 s24, 0, s27
	v_add_co_u32 v1, s19, v1, s19
	s_delay_alu instid0(VALU_DEP_1) | instskip(SKIP_1) | instid1(VALU_DEP_1)
	s_cmp_lg_u32 s19, 0
	s_addc_u32 s14, s14, s24
	v_readfirstlane_b32 s19, v1
	s_mul_i32 s27, s25, s14
	s_mov_b32 s24, s17
	s_delay_alu instid0(VALU_DEP_1)
	s_mul_hi_u32 s28, s25, s19
	s_mul_i32 s26, s26, s19
	s_add_i32 s27, s28, s27
	s_mul_i32 s25, s25, s19
	s_add_i32 s27, s27, s26
	s_mul_hi_u32 s28, s14, s25
	s_mul_i32 s29, s14, s25
	s_mul_hi_u32 s25, s19, s25
	s_mul_hi_u32 s30, s19, s27
	s_mul_i32 s19, s19, s27
	s_mul_hi_u32 s26, s14, s27
	s_add_u32 s19, s25, s19
	s_addc_u32 s25, 0, s30
	s_add_u32 s19, s19, s29
	s_mul_i32 s27, s14, s27
	s_addc_u32 s19, s25, s28
	s_addc_u32 s25, s26, 0
	s_add_u32 s19, s19, s27
	s_addc_u32 s26, 0, s25
	v_add_co_u32 v1, s19, v1, s19
	s_delay_alu instid0(VALU_DEP_1)
	s_cmp_lg_u32 s19, 0
	s_mov_b32 s25, s17
	s_addc_u32 s14, s14, s26
	s_add_u32 s26, s16, s17
	v_readfirstlane_b32 s19, v1
	s_addc_u32 s27, s17, s17
	s_delay_alu instid0(SALU_CYCLE_1) | instskip(NEXT) | instid1(SALU_CYCLE_1)
	s_xor_b64 s[26:27], s[26:27], s[24:25]
	s_mul_i32 s29, s26, s14
	s_delay_alu instid0(VALU_DEP_1)
	s_mul_hi_u32 s30, s26, s19
	s_mul_hi_u32 s28, s26, s14
	;; [unrolled: 1-line block ×3, first 2 shown]
	s_mul_i32 s19, s27, s19
	s_add_u32 s29, s30, s29
	s_addc_u32 s28, 0, s28
	s_mul_hi_u32 s31, s27, s14
	s_add_u32 s19, s29, s19
	s_mul_i32 s14, s27, s14
	s_addc_u32 s19, s28, s33
	s_addc_u32 s28, s31, 0
	s_add_u32 s14, s19, s14
	s_addc_u32 s19, 0, s28
	s_mul_i32 s31, s22, s14
	s_mul_hi_u32 s28, s22, s14
	s_mul_i32 s30, s22, s19
	v_sub_co_u32 v1, s26, s26, s31
	s_mul_i32 s29, s23, s14
	s_add_i32 s28, s28, s30
	s_delay_alu instid0(SALU_CYCLE_1) | instskip(NEXT) | instid1(VALU_DEP_1)
	s_add_i32 s28, s28, s29
	v_sub_co_u32 v2, s30, v1, s22
	s_sub_i32 s29, s27, s28
	s_cmp_lg_u32 s26, 0
	s_subb_u32 s29, s29, s23
	s_cmp_lg_u32 s30, 0
	v_readfirstlane_b32 s30, v2
	s_subb_u32 s29, s29, 0
	s_delay_alu instid0(SALU_CYCLE_1) | instskip(SKIP_1) | instid1(VALU_DEP_1)
	s_cmp_ge_u32 s29, s23
	s_cselect_b32 s31, -1, 0
	s_cmp_ge_u32 s30, s22
	s_cselect_b32 s30, -1, 0
	s_cmp_eq_u32 s29, s23
	s_cselect_b32 s29, s30, s31
	s_add_u32 s30, s14, 1
	s_addc_u32 s31, s19, 0
	s_add_u32 s33, s14, 2
	s_addc_u32 s34, s19, 0
	s_cmp_lg_u32 s29, 0
	s_cselect_b32 s29, s33, s30
	s_cselect_b32 s30, s34, s31
	s_cmp_lg_u32 s26, 0
	v_readfirstlane_b32 s26, v1
	s_subb_u32 s27, s27, s28
	s_delay_alu instid0(SALU_CYCLE_1) | instskip(SKIP_1) | instid1(VALU_DEP_1)
	s_cmp_ge_u32 s27, s23
	s_cselect_b32 s28, -1, 0
	s_cmp_ge_u32 s26, s22
	s_cselect_b32 s22, -1, 0
	s_cmp_eq_u32 s27, s23
	s_cselect_b32 s22, s22, s28
	s_delay_alu instid0(SALU_CYCLE_1) | instskip(SKIP_3) | instid1(SALU_CYCLE_1)
	s_cmp_lg_u32 s22, 0
	s_cselect_b32 s23, s30, s19
	s_cselect_b32 s22, s29, s14
	s_xor_b64 s[20:21], s[24:25], s[20:21]
	s_xor_b64 s[22:23], s[22:23], s[20:21]
	s_delay_alu instid0(SALU_CYCLE_1)
	s_sub_u32 s20, s22, s20
	s_subb_u32 s21, s23, s21
	s_and_not1_b32 vcc_lo, exec_lo, s18
	s_cbranch_vccnz .LBB36_6
.LBB36_5:
	v_cvt_f32_u32_e32 v1, s10
	s_sub_i32 s18, 0, s10
	s_mov_b32 s21, 0
	s_delay_alu instid0(VALU_DEP_1) | instskip(SKIP_2) | instid1(VALU_DEP_1)
	v_rcp_iflag_f32_e32 v1, v1
	s_waitcnt_depctr 0xfff
	v_mul_f32_e32 v1, 0x4f7ffffe, v1
	v_cvt_u32_f32_e32 v1, v1
	s_delay_alu instid0(VALU_DEP_1) | instskip(NEXT) | instid1(VALU_DEP_1)
	v_readfirstlane_b32 s14, v1
	s_mul_i32 s18, s18, s14
	s_delay_alu instid0(SALU_CYCLE_1) | instskip(NEXT) | instid1(SALU_CYCLE_1)
	s_mul_hi_u32 s18, s14, s18
	s_add_i32 s14, s14, s18
	s_delay_alu instid0(SALU_CYCLE_1) | instskip(NEXT) | instid1(SALU_CYCLE_1)
	s_mul_hi_u32 s14, s16, s14
	s_mul_i32 s18, s14, s10
	s_add_i32 s19, s14, 1
	s_sub_i32 s18, s16, s18
	s_delay_alu instid0(SALU_CYCLE_1)
	s_sub_i32 s20, s18, s10
	s_cmp_ge_u32 s18, s10
	s_cselect_b32 s14, s19, s14
	s_cselect_b32 s18, s20, s18
	s_add_i32 s19, s14, 1
	s_cmp_ge_u32 s18, s10
	s_cselect_b32 s20, s19, s14
.LBB36_6:
	s_delay_alu instid0(SALU_CYCLE_1)
	s_mul_i32 s11, s20, s11
	s_mul_hi_u32 s14, s20, s10
	s_mul_i32 s9, s2, s9
	s_add_i32 s11, s14, s11
	s_mul_i32 s14, s21, s10
	s_mul_i32 s10, s20, s10
	s_add_i32 s11, s11, s14
	s_sub_u32 s14, s16, s10
	s_subb_u32 s16, s17, s11
	s_mul_hi_u32 s17, s2, s8
	s_bfe_i64 s[10:11], s[2:3], 0x200000
	s_add_i32 s3, s17, s9
	s_mul_i32 s9, s11, s8
	s_mul_i32 s2, s2, s8
	s_add_i32 s3, s3, s9
	s_mul_i32 s7, s20, s7
	s_lshl_b64 s[8:9], s[2:3], 1
	s_mul_hi_u32 s17, s20, s6
	s_waitcnt lgkmcnt(0)
	s_add_u32 s10, s12, s8
	s_addc_u32 s11, s13, s9
	s_bfe_i64 s[2:3], s[20:21], 0x200000
	s_add_i32 s2, s17, s7
	s_mul_i32 s3, s3, s6
	s_load_b32 s17, s[0:1], 0x5c
	s_add_i32 s3, s2, s3
	s_mul_i32 s2, s20, s6
	s_mul_i32 s5, s14, s5
	s_lshl_b64 s[6:7], s[2:3], 1
	s_load_b32 s3, s[0:1], 0x48
	s_add_u32 s2, s10, s6
	s_mul_hi_u32 s10, s14, s4
	s_addc_u32 s11, s11, s7
	s_add_i32 s5, s10, s5
	s_mul_i32 s16, s16, s4
	s_mul_i32 s4, s14, s4
	s_add_i32 s5, s5, s16
	s_delay_alu instid0(SALU_CYCLE_1) | instskip(NEXT) | instid1(SALU_CYCLE_1)
	s_lshl_b64 s[4:5], s[4:5], 1
	s_add_u32 s14, s2, s4
	s_addc_u32 s16, s11, s5
	s_and_b32 s10, s14, 15
	s_mov_b32 s11, 0
	s_waitcnt lgkmcnt(0)
	s_and_b32 s17, s17, 0xffff
	s_cmp_lg_u64 s[10:11], 0
	s_cselect_b32 s2, -1, 0
	s_and_b32 s10, s3, 7
	s_delay_alu instid0(SALU_CYCLE_1) | instskip(SKIP_1) | instid1(SALU_CYCLE_1)
	s_cmp_lg_u32 s10, 0
	s_cselect_b32 s10, -1, 0
	s_or_b32 s2, s10, s2
	s_delay_alu instid0(SALU_CYCLE_1)
	s_and_b32 vcc_lo, exec_lo, s2
	s_cbranch_vccz .LBB36_20
; %bb.7:
	s_sub_i32 s2, 0, s14
	v_mov_b32_e32 v4, 0
	s_bfe_u32 s2, s2, 0x30001
	s_mov_b32 s11, exec_lo
	s_min_i32 s10, s2, s3
	s_delay_alu instid0(SALU_CYCLE_1)
	v_cmpx_gt_i32_e64 s10, v0
	s_cbranch_execz .LBB36_11
; %bb.8:
	s_add_u32 s2, s4, s8
	s_addc_u32 s18, s5, s9
	v_dual_mov_b32 v4, 0 :: v_dual_lshlrev_b32 v1, 1, v0
	s_add_u32 s2, s2, s6
	s_addc_u32 s18, s18, s7
	s_add_u32 s2, s12, s2
	s_addc_u32 s18, s13, s18
	v_add_co_u32 v1, s2, s2, v1
	s_delay_alu instid0(VALU_DEP_1)
	v_add_co_ci_u32_e64 v2, null, s18, 0, s2
	v_mov_b32_e32 v3, v0
	s_mov_b32 s18, 0
	s_lshl_b32 s19, s17, 1
.LBB36_9:                               ; =>This Inner Loop Header: Depth=1
	global_load_u16 v5, v[1:2], off
	v_add_nc_u32_e32 v3, s17, v3
	v_add_co_u32 v1, vcc_lo, v1, s19
	v_add_co_ci_u32_e32 v2, vcc_lo, 0, v2, vcc_lo
	s_delay_alu instid0(VALU_DEP_3) | instskip(NEXT) | instid1(VALU_DEP_1)
	v_cmp_le_i32_e64 s2, s10, v3
	s_or_b32 s18, s2, s18
	s_waitcnt vmcnt(0)
	v_fma_mix_f32 v4, v5, v5, v4 op_sel_hi:[1,1,0]
	s_and_not1_b32 exec_lo, exec_lo, s18
	s_cbranch_execnz .LBB36_9
; %bb.10:
	s_or_b32 exec_lo, exec_lo, s18
.LBB36_11:
	s_delay_alu instid0(SALU_CYCLE_1)
	s_or_b32 exec_lo, exec_lo, s11
	s_sub_i32 s18, s3, s10
	s_ashr_i32 s11, s10, 31
	s_ashr_i32 s2, s18, 31
	s_mov_b32 s20, exec_lo
	s_lshr_b32 s2, s2, 29
	s_delay_alu instid0(SALU_CYCLE_1) | instskip(NEXT) | instid1(SALU_CYCLE_1)
	s_add_i32 s2, s18, s2
	s_ashr_i32 s19, s2, 3
	s_delay_alu instid0(SALU_CYCLE_1)
	v_cmpx_gt_i32_e64 s19, v0
	s_cbranch_execz .LBB36_15
; %bb.12:
	s_add_u32 s2, s4, s8
	s_addc_u32 s21, s5, s9
	s_add_u32 s2, s2, s6
	s_addc_u32 s21, s21, s7
	s_lshl_b64 s[22:23], s[10:11], 1
	v_lshlrev_b32_e32 v1, 4, v0
	s_add_u32 s22, s12, s22
	s_addc_u32 s23, s13, s23
	s_add_u32 s2, s22, s2
	s_addc_u32 s21, s23, s21
	v_add_co_u32 v1, s2, s2, v1
	s_delay_alu instid0(VALU_DEP_1)
	v_add_co_ci_u32_e64 v2, null, s21, 0, s2
	v_mov_b32_e32 v3, v0
	s_mov_b32 s21, 0
	s_lshl_b32 s22, s17, 4
	.p2align	6
.LBB36_13:                              ; =>This Inner Loop Header: Depth=1
	global_load_b128 v[5:8], v[1:2], off
	v_add_nc_u32_e32 v3, s17, v3
	v_add_co_u32 v1, vcc_lo, v1, s22
	v_add_co_ci_u32_e32 v2, vcc_lo, 0, v2, vcc_lo
	s_delay_alu instid0(VALU_DEP_3) | instskip(NEXT) | instid1(VALU_DEP_1)
	v_cmp_le_i32_e64 s2, s19, v3
	s_or_b32 s21, s2, s21
	s_waitcnt vmcnt(0)
	v_fma_mix_f32 v4, v5, v5, v4 op_sel_hi:[1,1,0]
	s_delay_alu instid0(VALU_DEP_1) | instskip(NEXT) | instid1(VALU_DEP_1)
	v_fma_mix_f32 v4, v5, v5, v4 op_sel:[1,1,0] op_sel_hi:[1,1,0]
	v_fma_mix_f32 v4, v6, v6, v4 op_sel_hi:[1,1,0]
	s_delay_alu instid0(VALU_DEP_1) | instskip(NEXT) | instid1(VALU_DEP_1)
	v_fma_mix_f32 v4, v6, v6, v4 op_sel:[1,1,0] op_sel_hi:[1,1,0]
	;; [unrolled: 3-line block ×3, first 2 shown]
	v_fma_mix_f32 v4, v8, v8, v4 op_sel_hi:[1,1,0]
	s_delay_alu instid0(VALU_DEP_1)
	v_fma_mix_f32 v4, v8, v8, v4 op_sel:[1,1,0] op_sel_hi:[1,1,0]
	s_and_not1_b32 exec_lo, exec_lo, s21
	s_cbranch_execnz .LBB36_13
; %bb.14:
	s_or_b32 exec_lo, exec_lo, s21
.LBB36_15:
	s_delay_alu instid0(SALU_CYCLE_1) | instskip(SKIP_2) | instid1(VALU_DEP_1)
	s_or_b32 exec_lo, exec_lo, s20
	v_lshl_add_u32 v1, s19, 3, v0
	s_mov_b32 s19, exec_lo
	v_cmpx_gt_i32_e64 s18, v1
	s_cbranch_execz .LBB36_19
; %bb.16:
	v_ashrrev_i32_e32 v2, 31, v1
	s_add_u32 s2, s4, s8
	s_addc_u32 s20, s5, s9
	s_add_u32 s2, s2, s6
	s_addc_u32 s20, s20, s7
	s_lshl_b64 s[10:11], s[10:11], 1
	v_lshlrev_b64 v[2:3], 1, v[1:2]
	s_add_u32 s2, s2, s10
	s_addc_u32 s10, s20, s11
	s_add_u32 s2, s12, s2
	s_addc_u32 s10, s13, s10
	s_lshl_b32 s11, s17, 1
	v_add_co_u32 v2, vcc_lo, s2, v2
	v_add_co_ci_u32_e32 v3, vcc_lo, s10, v3, vcc_lo
	s_mov_b32 s10, 0
.LBB36_17:                              ; =>This Inner Loop Header: Depth=1
	global_load_u16 v5, v[2:3], off
	v_add_nc_u32_e32 v1, s17, v1
	v_add_co_u32 v2, vcc_lo, v2, s11
	v_add_co_ci_u32_e32 v3, vcc_lo, 0, v3, vcc_lo
	s_delay_alu instid0(VALU_DEP_3) | instskip(NEXT) | instid1(VALU_DEP_1)
	v_cmp_le_i32_e64 s2, s18, v1
	s_or_b32 s10, s2, s10
	s_waitcnt vmcnt(0)
	v_fma_mix_f32 v4, v5, v5, v4 op_sel_hi:[1,1,0]
	s_and_not1_b32 exec_lo, exec_lo, s10
	s_cbranch_execnz .LBB36_17
; %bb.18:
	s_or_b32 exec_lo, exec_lo, s10
.LBB36_19:
	s_delay_alu instid0(SALU_CYCLE_1)
	s_or_b32 exec_lo, exec_lo, s19
	s_branch .LBB36_26
.LBB36_20:
                                        ; implicit-def: $vgpr4
	s_cbranch_execz .LBB36_26
; %bb.21:
	v_mov_b32_e32 v4, 0
	s_ashr_i32 s11, s3, 3
	s_mov_b32 s10, exec_lo
	v_cmpx_gt_i32_e64 s11, v0
	s_cbranch_execz .LBB36_25
; %bb.22:
	s_add_u32 s2, s4, s8
	s_addc_u32 s4, s5, s9
	v_dual_mov_b32 v4, 0 :: v_dual_lshlrev_b32 v1, 4, v0
	s_add_u32 s2, s2, s6
	s_addc_u32 s4, s4, s7
	s_add_u32 s2, s12, s2
	s_addc_u32 s4, s13, s4
	v_add_co_u32 v1, s2, s2, v1
	s_delay_alu instid0(VALU_DEP_1)
	v_add_co_ci_u32_e64 v2, null, s4, 0, s2
	v_mov_b32_e32 v3, v0
	s_mov_b32 s4, 0
	s_lshl_b32 s5, s17, 4
	.p2align	6
.LBB36_23:                              ; =>This Inner Loop Header: Depth=1
	global_load_b128 v[5:8], v[1:2], off
	v_add_nc_u32_e32 v3, s17, v3
	v_add_co_u32 v1, vcc_lo, v1, s5
	v_add_co_ci_u32_e32 v2, vcc_lo, 0, v2, vcc_lo
	s_delay_alu instid0(VALU_DEP_3) | instskip(NEXT) | instid1(VALU_DEP_1)
	v_cmp_le_i32_e64 s2, s11, v3
	s_or_b32 s4, s2, s4
	s_waitcnt vmcnt(0)
	v_fma_mix_f32 v4, v5, v5, v4 op_sel_hi:[1,1,0]
	s_delay_alu instid0(VALU_DEP_1) | instskip(NEXT) | instid1(VALU_DEP_1)
	v_fma_mix_f32 v4, v5, v5, v4 op_sel:[1,1,0] op_sel_hi:[1,1,0]
	v_fma_mix_f32 v4, v6, v6, v4 op_sel_hi:[1,1,0]
	s_delay_alu instid0(VALU_DEP_1) | instskip(NEXT) | instid1(VALU_DEP_1)
	v_fma_mix_f32 v4, v6, v6, v4 op_sel:[1,1,0] op_sel_hi:[1,1,0]
	;; [unrolled: 3-line block ×3, first 2 shown]
	v_fma_mix_f32 v4, v8, v8, v4 op_sel_hi:[1,1,0]
	s_delay_alu instid0(VALU_DEP_1)
	v_fma_mix_f32 v4, v8, v8, v4 op_sel:[1,1,0] op_sel_hi:[1,1,0]
	s_and_not1_b32 exec_lo, exec_lo, s4
	s_cbranch_execnz .LBB36_23
; %bb.24:
	s_or_b32 exec_lo, exec_lo, s4
.LBB36_25:
	s_delay_alu instid0(SALU_CYCLE_1)
	s_or_b32 exec_lo, exec_lo, s10
.LBB36_26:
	v_mbcnt_lo_u32_b32 v1, -1, 0
	v_and_b32_e32 v3, 0x3e0, v0
	s_mov_b32 s2, exec_lo
	s_delay_alu instid0(VALU_DEP_2) | instskip(NEXT) | instid1(VALU_DEP_2)
	v_cmp_ne_u32_e32 vcc_lo, 31, v1
	v_sub_nc_u32_e64 v12, s17, v3 clamp
	v_add_nc_u32_e32 v3, 1, v1
	v_add_co_ci_u32_e32 v2, vcc_lo, 0, v1, vcc_lo
	v_cmp_gt_u32_e32 vcc_lo, 30, v1
	s_delay_alu instid0(VALU_DEP_2)
	v_lshlrev_b32_e32 v2, 2, v2
	v_cndmask_b32_e64 v6, 0, 1, vcc_lo
	v_cmp_lt_u32_e32 vcc_lo, v3, v12
	ds_bpermute_b32 v5, v2, v4
	s_waitcnt lgkmcnt(0)
	v_dual_add_f32 v7, v4, v5 :: v_dual_lshlrev_b32 v6, 1, v6
	s_delay_alu instid0(VALU_DEP_1) | instskip(NEXT) | instid1(VALU_DEP_2)
	v_cndmask_b32_e32 v7, v4, v7, vcc_lo
	v_add_lshl_u32 v5, v6, v1, 2
	v_cmp_gt_u32_e32 vcc_lo, 28, v1
	ds_bpermute_b32 v6, v5, v7
	v_cndmask_b32_e64 v4, 0, 1, vcc_lo
	s_delay_alu instid0(VALU_DEP_1) | instskip(SKIP_1) | instid1(VALU_DEP_1)
	v_lshlrev_b32_e32 v8, 2, v4
	v_add_nc_u32_e32 v4, 2, v1
	v_cmp_lt_u32_e32 vcc_lo, v4, v12
	s_waitcnt lgkmcnt(0)
	v_add_f32_e32 v9, v7, v6
	v_add_lshl_u32 v6, v8, v1, 2
	s_delay_alu instid0(VALU_DEP_2) | instskip(SKIP_2) | instid1(VALU_DEP_1)
	v_cndmask_b32_e32 v9, v7, v9, vcc_lo
	v_cmp_gt_u32_e32 vcc_lo, 24, v1
	v_cndmask_b32_e64 v7, 0, 1, vcc_lo
	v_lshlrev_b32_e32 v10, 3, v7
	ds_bpermute_b32 v8, v6, v9
	v_add_nc_u32_e32 v7, 4, v1
	s_delay_alu instid0(VALU_DEP_1) | instskip(SKIP_3) | instid1(VALU_DEP_2)
	v_cmp_lt_u32_e32 vcc_lo, v7, v12
	s_waitcnt lgkmcnt(0)
	v_add_f32_e32 v11, v9, v8
	v_add_lshl_u32 v8, v10, v1, 2
	v_cndmask_b32_e32 v11, v9, v11, vcc_lo
	v_cmp_gt_u32_e32 vcc_lo, 16, v1
	ds_bpermute_b32 v10, v8, v11
	v_cndmask_b32_e64 v9, 0, 1, vcc_lo
	s_delay_alu instid0(VALU_DEP_1) | instskip(SKIP_1) | instid1(VALU_DEP_1)
	v_lshlrev_b32_e32 v13, 4, v9
	v_add_nc_u32_e32 v9, 8, v1
	v_cmp_lt_u32_e32 vcc_lo, v9, v12
	s_waitcnt lgkmcnt(0)
	v_add_f32_e32 v14, v11, v10
	v_add_lshl_u32 v10, v13, v1, 2
	s_delay_alu instid0(VALU_DEP_2)
	v_cndmask_b32_e32 v13, v11, v14, vcc_lo
	v_add_nc_u32_e32 v11, 16, v1
	ds_bpermute_b32 v14, v10, v13
	v_cmp_lt_u32_e32 vcc_lo, v11, v12
	s_waitcnt lgkmcnt(0)
	v_add_f32_e32 v14, v13, v14
	s_delay_alu instid0(VALU_DEP_1)
	v_cndmask_b32_e32 v12, v13, v14, vcc_lo
	v_cmpx_eq_u32_e32 0, v1
	s_cbranch_execz .LBB36_28
; %bb.27:
	v_lshrrev_b32_e32 v13, 3, v0
	s_delay_alu instid0(VALU_DEP_1)
	v_and_b32_e32 v13, 0x7c, v13
	ds_store_b32 v13, v12
.LBB36_28:
	s_or_b32 exec_lo, exec_lo, s2
	s_delay_alu instid0(SALU_CYCLE_1)
	s_mov_b32 s2, exec_lo
	s_waitcnt lgkmcnt(0)
	s_barrier
	buffer_gl0_inv
	v_cmpx_gt_u32_e32 32, v0
	s_cbranch_execz .LBB36_30
; %bb.29:
	v_lshlrev_b32_e32 v1, 2, v1
	s_add_i32 s4, s17, 31
	s_delay_alu instid0(SALU_CYCLE_1) | instskip(NEXT) | instid1(SALU_CYCLE_1)
	s_lshr_b32 s4, s4, 5
	v_cmp_gt_u32_e32 vcc_lo, s4, v3
	ds_load_b32 v1, v1
	s_waitcnt lgkmcnt(0)
	ds_bpermute_b32 v2, v2, v1
	s_waitcnt lgkmcnt(0)
	v_add_f32_e32 v2, v1, v2
	s_delay_alu instid0(VALU_DEP_1) | instskip(SKIP_4) | instid1(VALU_DEP_1)
	v_cndmask_b32_e32 v1, v1, v2, vcc_lo
	v_cmp_gt_u32_e32 vcc_lo, s4, v4
	ds_bpermute_b32 v2, v5, v1
	s_waitcnt lgkmcnt(0)
	v_add_f32_e32 v2, v1, v2
	v_cndmask_b32_e32 v1, v1, v2, vcc_lo
	v_cmp_gt_u32_e32 vcc_lo, s4, v7
	ds_bpermute_b32 v2, v6, v1
	s_waitcnt lgkmcnt(0)
	v_add_f32_e32 v2, v1, v2
	s_delay_alu instid0(VALU_DEP_1) | instskip(SKIP_4) | instid1(VALU_DEP_1)
	v_cndmask_b32_e32 v1, v1, v2, vcc_lo
	v_cmp_gt_u32_e32 vcc_lo, s4, v9
	ds_bpermute_b32 v2, v8, v1
	s_waitcnt lgkmcnt(0)
	v_add_f32_e32 v2, v1, v2
	v_cndmask_b32_e32 v1, v1, v2, vcc_lo
	v_cmp_gt_u32_e32 vcc_lo, s4, v11
	ds_bpermute_b32 v2, v10, v1
	s_waitcnt lgkmcnt(0)
	v_add_f32_e32 v2, v1, v2
	s_delay_alu instid0(VALU_DEP_1)
	v_cndmask_b32_e32 v12, v1, v2, vcc_lo
.LBB36_30:
	s_or_b32 exec_lo, exec_lo, s2
	s_delay_alu instid0(SALU_CYCLE_1)
	s_mov_b32 s2, exec_lo
	v_cmpx_eq_u32_e32 0, v0
	s_cbranch_execz .LBB36_32
; %bb.31:
	v_cvt_f32_i32_e32 v1, s3
	s_load_b32 s4, s[0:1], 0x40
	s_delay_alu instid0(VALU_DEP_1) | instskip(SKIP_1) | instid1(VALU_DEP_2)
	v_div_scale_f32 v2, null, v1, v1, v12
	v_div_scale_f32 v5, vcc_lo, v12, v1, v12
	v_rcp_f32_e32 v3, v2
	s_waitcnt_depctr 0xfff
	v_fma_f32 v4, -v2, v3, 1.0
	s_delay_alu instid0(VALU_DEP_1) | instskip(NEXT) | instid1(VALU_DEP_1)
	v_fmac_f32_e32 v3, v4, v3
	v_mul_f32_e32 v4, v5, v3
	s_delay_alu instid0(VALU_DEP_1) | instskip(NEXT) | instid1(VALU_DEP_1)
	v_fma_f32 v6, -v2, v4, v5
	v_fmac_f32_e32 v4, v6, v3
	s_delay_alu instid0(VALU_DEP_1) | instskip(NEXT) | instid1(VALU_DEP_1)
	v_fma_f32 v2, -v2, v4, v5
	v_div_fmas_f32 v2, v2, v3, v4
	s_delay_alu instid0(VALU_DEP_1) | instskip(SKIP_1) | instid1(VALU_DEP_1)
	v_div_fixup_f32 v1, v2, v1, v12
	s_waitcnt lgkmcnt(0)
	v_add_f32_e32 v1, s4, v1
	s_delay_alu instid0(VALU_DEP_1) | instskip(SKIP_1) | instid1(VALU_DEP_2)
	v_mul_f32_e32 v2, 0x4b800000, v1
	v_cmp_gt_f32_e32 vcc_lo, 0x800000, v1
	v_cndmask_b32_e32 v1, v1, v2, vcc_lo
	s_delay_alu instid0(VALU_DEP_1) | instskip(SKIP_2) | instid1(VALU_DEP_1)
	v_rsq_f32_e32 v1, v1
	s_waitcnt_depctr 0xfff
	v_mul_f32_e32 v2, 0x45800000, v1
	v_dual_cndmask_b32 v1, v1, v2 :: v_dual_mov_b32 v2, 0
	ds_store_b32 v2, v1 offset:128
.LBB36_32:
	s_or_b32 exec_lo, exec_lo, s2
	s_ashr_i32 s2, s3, 31
	s_waitcnt lgkmcnt(0)
	s_lshr_b32 s2, s2, 29
	s_barrier
	s_add_i32 s2, s3, s2
	buffer_gl0_inv
	s_ashr_i32 s4, s2, 3
	s_mov_b32 s2, exec_lo
	v_cmpx_gt_i32_e64 s4, v0
	s_cbranch_execz .LBB36_35
; %bb.33:
	v_dual_mov_b32 v1, 0 :: v_dual_lshlrev_b32 v2, 4, v0
	s_clause 0x1
	s_load_b64 s[6:7], s[0:1], 0x0
	s_load_b64 s[0:1], s[0:1], 0x38
	s_mul_i32 s2, s15, s3
	s_mov_b32 s3, 0
	ds_load_b32 v1, v1 offset:128
	s_lshl_b64 s[8:9], s[2:3], 1
	s_waitcnt lgkmcnt(0)
	s_add_u32 s2, s6, s8
	s_addc_u32 s5, s7, s9
	s_lshl_b32 s6, s17, 4
.LBB36_34:                              ; =>This Inner Loop Header: Depth=1
	v_add_co_u32 v3, s7, s14, v2
	s_delay_alu instid0(VALU_DEP_1) | instskip(SKIP_1) | instid1(VALU_DEP_1)
	v_add_co_ci_u32_e64 v4, null, s16, 0, s7
	v_add_co_u32 v7, s7, s0, v2
	v_add_co_ci_u32_e64 v8, null, s1, 0, s7
	global_load_b128 v[3:6], v[3:4], off
	v_add_nc_u32_e32 v0, s17, v0
	v_add_co_u32 v11, s7, s2, v2
	global_load_b128 v[7:10], v[7:8], off
	s_add_u32 s2, s2, s6
	v_add_co_ci_u32_e64 v12, null, s5, 0, s7
	s_addc_u32 s5, s5, 0
	v_cmp_le_i32_e32 vcc_lo, s4, v0
	s_add_u32 s14, s14, s6
	s_addc_u32 s16, s16, 0
	s_add_u32 s0, s0, s6
	s_addc_u32 s1, s1, 0
	s_or_b32 s3, vcc_lo, s3
	s_waitcnt vmcnt(1)
	v_fma_mixlo_f16 v13, v1, v3, 0 op_sel_hi:[0,1,0]
	v_fma_mixlo_f16 v14, v1, v4, 0 op_sel_hi:[0,1,0]
	;; [unrolled: 1-line block ×4, first 2 shown]
	s_delay_alu instid0(VALU_DEP_4) | instskip(NEXT) | instid1(VALU_DEP_4)
	v_fma_mixhi_f16 v13, v1, v3, 0 op_sel:[0,1,0] op_sel_hi:[0,1,0]
	v_fma_mixhi_f16 v14, v1, v4, 0 op_sel:[0,1,0] op_sel_hi:[0,1,0]
	s_delay_alu instid0(VALU_DEP_4) | instskip(NEXT) | instid1(VALU_DEP_4)
	v_fma_mixhi_f16 v15, v1, v5, 0 op_sel:[0,1,0] op_sel_hi:[0,1,0]
	v_fma_mixhi_f16 v16, v1, v6, 0 op_sel:[0,1,0] op_sel_hi:[0,1,0]
	s_waitcnt vmcnt(0)
	v_pk_mul_f16 v3, v7, v13
	v_pk_mul_f16 v4, v8, v14
	;; [unrolled: 1-line block ×4, first 2 shown]
	global_store_b128 v[11:12], v[3:6], off
	s_and_not1_b32 exec_lo, exec_lo, s3
	s_cbranch_execnz .LBB36_34
.LBB36_35:
	s_nop 0
	s_sendmsg sendmsg(MSG_DEALLOC_VGPRS)
	s_endpgm
.LBB36_36:
                                        ; implicit-def: $sgpr2_sgpr3
	s_branch .LBB36_2
.LBB36_37:
                                        ; implicit-def: $sgpr20_sgpr21
	s_branch .LBB36_5
	.section	.rodata,"a",@progbits
	.p2align	6, 0x0
	.amdhsa_kernel _ZN4vllm15rms_norm_kernelIN3c104HalfELi8ELi4EEEvPT_PKS3_lllllS6_fii
		.amdhsa_group_segment_fixed_size 132
		.amdhsa_private_segment_fixed_size 0
		.amdhsa_kernarg_size 336
		.amdhsa_user_sgpr_count 15
		.amdhsa_user_sgpr_dispatch_ptr 0
		.amdhsa_user_sgpr_queue_ptr 0
		.amdhsa_user_sgpr_kernarg_segment_ptr 1
		.amdhsa_user_sgpr_dispatch_id 0
		.amdhsa_user_sgpr_private_segment_size 0
		.amdhsa_wavefront_size32 1
		.amdhsa_uses_dynamic_stack 0
		.amdhsa_enable_private_segment 0
		.amdhsa_system_sgpr_workgroup_id_x 1
		.amdhsa_system_sgpr_workgroup_id_y 0
		.amdhsa_system_sgpr_workgroup_id_z 0
		.amdhsa_system_sgpr_workgroup_info 0
		.amdhsa_system_vgpr_workitem_id 0
		.amdhsa_next_free_vgpr 17
		.amdhsa_next_free_sgpr 35
		.amdhsa_reserve_vcc 1
		.amdhsa_float_round_mode_32 0
		.amdhsa_float_round_mode_16_64 0
		.amdhsa_float_denorm_mode_32 3
		.amdhsa_float_denorm_mode_16_64 3
		.amdhsa_dx10_clamp 1
		.amdhsa_ieee_mode 1
		.amdhsa_fp16_overflow 0
		.amdhsa_workgroup_processor_mode 1
		.amdhsa_memory_ordered 1
		.amdhsa_forward_progress 0
		.amdhsa_shared_vgpr_count 0
		.amdhsa_exception_fp_ieee_invalid_op 0
		.amdhsa_exception_fp_denorm_src 0
		.amdhsa_exception_fp_ieee_div_zero 0
		.amdhsa_exception_fp_ieee_overflow 0
		.amdhsa_exception_fp_ieee_underflow 0
		.amdhsa_exception_fp_ieee_inexact 0
		.amdhsa_exception_int_div_zero 0
	.end_amdhsa_kernel
	.section	.text._ZN4vllm15rms_norm_kernelIN3c104HalfELi8ELi4EEEvPT_PKS3_lllllS6_fii,"axG",@progbits,_ZN4vllm15rms_norm_kernelIN3c104HalfELi8ELi4EEEvPT_PKS3_lllllS6_fii,comdat
.Lfunc_end36:
	.size	_ZN4vllm15rms_norm_kernelIN3c104HalfELi8ELi4EEEvPT_PKS3_lllllS6_fii, .Lfunc_end36-_ZN4vllm15rms_norm_kernelIN3c104HalfELi8ELi4EEEvPT_PKS3_lllllS6_fii
                                        ; -- End function
	.section	.AMDGPU.csdata,"",@progbits
; Kernel info:
; codeLenInByte = 3732
; NumSgprs: 37
; NumVgprs: 17
; ScratchSize: 0
; MemoryBound: 0
; FloatMode: 240
; IeeeMode: 1
; LDSByteSize: 132 bytes/workgroup (compile time only)
; SGPRBlocks: 4
; VGPRBlocks: 2
; NumSGPRsForWavesPerEU: 37
; NumVGPRsForWavesPerEU: 17
; Occupancy: 16
; WaveLimiterHint : 0
; COMPUTE_PGM_RSRC2:SCRATCH_EN: 0
; COMPUTE_PGM_RSRC2:USER_SGPR: 15
; COMPUTE_PGM_RSRC2:TRAP_HANDLER: 0
; COMPUTE_PGM_RSRC2:TGID_X_EN: 1
; COMPUTE_PGM_RSRC2:TGID_Y_EN: 0
; COMPUTE_PGM_RSRC2:TGID_Z_EN: 0
; COMPUTE_PGM_RSRC2:TIDIG_COMP_CNT: 0
	.section	.text._ZN4vllm15rms_norm_kernelIN3c104HalfELi4ELi4EEEvPT_PKS3_lllllS6_fii,"axG",@progbits,_ZN4vllm15rms_norm_kernelIN3c104HalfELi4ELi4EEEvPT_PKS3_lllllS6_fii,comdat
	.protected	_ZN4vllm15rms_norm_kernelIN3c104HalfELi4ELi4EEEvPT_PKS3_lllllS6_fii ; -- Begin function _ZN4vllm15rms_norm_kernelIN3c104HalfELi4ELi4EEEvPT_PKS3_lllllS6_fii
	.globl	_ZN4vllm15rms_norm_kernelIN3c104HalfELi4ELi4EEEvPT_PKS3_lllllS6_fii
	.p2align	8
	.type	_ZN4vllm15rms_norm_kernelIN3c104HalfELi4ELi4EEEvPT_PKS3_lllllS6_fii,@function
_ZN4vllm15rms_norm_kernelIN3c104HalfELi4ELi4EEEvPT_PKS3_lllllS6_fii: ; @_ZN4vllm15rms_norm_kernelIN3c104HalfELi4ELi4EEEvPT_PKS3_lllllS6_fii
; %bb.0:
	s_clause 0x1
	s_load_b256 s[4:11], s[0:1], 0x10
	s_load_b64 s[2:3], s[0:1], 0x30
	s_waitcnt lgkmcnt(0)
	s_mul_i32 s12, s2, s11
	s_mul_hi_u32 s13, s2, s10
	s_mul_i32 s3, s3, s10
	s_add_i32 s13, s13, s12
	s_mov_b32 s12, 0
	s_add_i32 s13, s13, s3
	s_mul_i32 s14, s2, s10
	s_cmp_lg_u64 s[12:13], 0
	s_cbranch_scc0 .LBB37_36
; %bb.1:
	s_ashr_i32 s16, s13, 31
	s_delay_alu instid0(SALU_CYCLE_1) | instskip(SKIP_2) | instid1(SALU_CYCLE_1)
	s_add_u32 s2, s14, s16
	s_mov_b32 s17, s16
	s_addc_u32 s3, s13, s16
	s_xor_b64 s[2:3], s[2:3], s[16:17]
	s_delay_alu instid0(SALU_CYCLE_1) | instskip(SKIP_3) | instid1(VALU_DEP_1)
	v_cvt_f32_u32_e32 v1, s2
	v_cvt_f32_u32_e32 v2, s3
	s_sub_u32 s19, 0, s2
	s_subb_u32 s20, 0, s3
	v_fmamk_f32 v1, v2, 0x4f800000, v1
	s_delay_alu instid0(VALU_DEP_1) | instskip(SKIP_2) | instid1(VALU_DEP_1)
	v_rcp_f32_e32 v1, v1
	s_waitcnt_depctr 0xfff
	v_mul_f32_e32 v1, 0x5f7ffffc, v1
	v_mul_f32_e32 v2, 0x2f800000, v1
	s_delay_alu instid0(VALU_DEP_1) | instskip(NEXT) | instid1(VALU_DEP_1)
	v_trunc_f32_e32 v2, v2
	v_fmamk_f32 v1, v2, 0xcf800000, v1
	v_cvt_u32_f32_e32 v2, v2
	s_delay_alu instid0(VALU_DEP_2) | instskip(NEXT) | instid1(VALU_DEP_2)
	v_cvt_u32_f32_e32 v1, v1
	v_readfirstlane_b32 s13, v2
	s_delay_alu instid0(VALU_DEP_2) | instskip(NEXT) | instid1(VALU_DEP_2)
	v_readfirstlane_b32 s18, v1
	s_mul_i32 s21, s19, s13
	s_delay_alu instid0(VALU_DEP_1)
	s_mul_hi_u32 s23, s19, s18
	s_mul_i32 s22, s20, s18
	s_add_i32 s21, s23, s21
	s_mul_i32 s24, s19, s18
	s_add_i32 s21, s21, s22
	s_mul_hi_u32 s23, s18, s24
	s_mul_hi_u32 s25, s13, s24
	s_mul_i32 s22, s13, s24
	s_mul_hi_u32 s24, s18, s21
	s_mul_i32 s18, s18, s21
	s_mul_hi_u32 s26, s13, s21
	s_add_u32 s18, s23, s18
	s_addc_u32 s23, 0, s24
	s_add_u32 s18, s18, s22
	s_mul_i32 s21, s13, s21
	s_addc_u32 s18, s23, s25
	s_addc_u32 s22, s26, 0
	s_add_u32 s18, s18, s21
	s_addc_u32 s21, 0, s22
	v_add_co_u32 v1, s18, v1, s18
	s_delay_alu instid0(VALU_DEP_1) | instskip(SKIP_1) | instid1(VALU_DEP_1)
	s_cmp_lg_u32 s18, 0
	s_addc_u32 s13, s13, s21
	v_readfirstlane_b32 s18, v1
	s_mul_i32 s21, s19, s13
	s_delay_alu instid0(VALU_DEP_1)
	s_mul_hi_u32 s22, s19, s18
	s_mul_i32 s20, s20, s18
	s_add_i32 s21, s22, s21
	s_mul_i32 s19, s19, s18
	s_add_i32 s21, s21, s20
	s_mul_hi_u32 s22, s13, s19
	s_mul_i32 s23, s13, s19
	s_mul_hi_u32 s19, s18, s19
	s_mul_hi_u32 s24, s18, s21
	s_mul_i32 s18, s18, s21
	s_mul_hi_u32 s20, s13, s21
	s_add_u32 s18, s19, s18
	s_addc_u32 s19, 0, s24
	s_add_u32 s18, s18, s23
	s_mul_i32 s21, s13, s21
	s_addc_u32 s18, s19, s22
	s_addc_u32 s19, s20, 0
	s_add_u32 s18, s18, s21
	s_addc_u32 s19, 0, s19
	v_add_co_u32 v1, s18, v1, s18
	s_delay_alu instid0(VALU_DEP_1) | instskip(SKIP_1) | instid1(VALU_DEP_1)
	s_cmp_lg_u32 s18, 0
	s_addc_u32 s13, s13, s19
	v_readfirstlane_b32 s18, v1
	s_mul_i32 s19, s15, s13
	s_mul_hi_u32 s13, s15, s13
	s_delay_alu instid0(VALU_DEP_1) | instskip(NEXT) | instid1(SALU_CYCLE_1)
	s_mul_hi_u32 s18, s15, s18
	s_add_u32 s18, s18, s19
	s_addc_u32 s13, 0, s13
	s_add_u32 s18, s18, 0
	s_addc_u32 s13, s13, 0
	s_addc_u32 s18, 0, 0
	s_add_u32 s13, s13, 0
	s_addc_u32 s18, 0, s18
	s_mul_hi_u32 s19, s2, s13
	s_mul_i32 s21, s2, s18
	s_mul_i32 s22, s2, s13
	s_add_i32 s19, s19, s21
	v_sub_co_u32 v1, s21, s15, s22
	s_mul_i32 s20, s3, s13
	s_delay_alu instid0(SALU_CYCLE_1) | instskip(NEXT) | instid1(VALU_DEP_1)
	s_add_i32 s19, s19, s20
	v_sub_co_u32 v2, s22, v1, s2
	s_sub_i32 s20, 0, s19
	s_cmp_lg_u32 s21, 0
	s_subb_u32 s20, s20, s3
	s_cmp_lg_u32 s22, 0
	v_readfirstlane_b32 s22, v2
	s_subb_u32 s20, s20, 0
	s_delay_alu instid0(SALU_CYCLE_1) | instskip(SKIP_1) | instid1(VALU_DEP_1)
	s_cmp_ge_u32 s20, s3
	s_cselect_b32 s23, -1, 0
	s_cmp_ge_u32 s22, s2
	s_cselect_b32 s22, -1, 0
	s_cmp_eq_u32 s20, s3
	s_cselect_b32 s20, s22, s23
	s_add_u32 s22, s13, 1
	s_addc_u32 s23, s18, 0
	s_add_u32 s24, s13, 2
	s_addc_u32 s25, s18, 0
	s_cmp_lg_u32 s20, 0
	s_cselect_b32 s20, s24, s22
	s_cselect_b32 s22, s25, s23
	s_cmp_lg_u32 s21, 0
	v_readfirstlane_b32 s21, v1
	s_subb_u32 s19, 0, s19
	s_delay_alu instid0(SALU_CYCLE_1) | instskip(SKIP_1) | instid1(VALU_DEP_1)
	s_cmp_ge_u32 s19, s3
	s_cselect_b32 s23, -1, 0
	s_cmp_ge_u32 s21, s2
	s_cselect_b32 s2, -1, 0
	s_cmp_eq_u32 s19, s3
	s_cselect_b32 s2, s2, s23
	s_delay_alu instid0(SALU_CYCLE_1) | instskip(SKIP_2) | instid1(SALU_CYCLE_1)
	s_cmp_lg_u32 s2, 0
	s_cselect_b32 s3, s22, s18
	s_cselect_b32 s2, s20, s13
	s_xor_b64 s[2:3], s[2:3], s[16:17]
	s_delay_alu instid0(SALU_CYCLE_1)
	s_sub_u32 s2, s2, s16
	s_subb_u32 s3, s3, s16
	s_and_not1_b32 vcc_lo, exec_lo, s12
	s_cbranch_vccnz .LBB37_3
.LBB37_2:
	v_cvt_f32_u32_e32 v1, s14
	s_sub_i32 s3, 0, s14
	s_delay_alu instid0(VALU_DEP_1) | instskip(SKIP_2) | instid1(VALU_DEP_1)
	v_rcp_iflag_f32_e32 v1, v1
	s_waitcnt_depctr 0xfff
	v_mul_f32_e32 v1, 0x4f7ffffe, v1
	v_cvt_u32_f32_e32 v1, v1
	s_delay_alu instid0(VALU_DEP_1) | instskip(NEXT) | instid1(VALU_DEP_1)
	v_readfirstlane_b32 s2, v1
	s_mul_i32 s3, s3, s2
	s_delay_alu instid0(SALU_CYCLE_1) | instskip(NEXT) | instid1(SALU_CYCLE_1)
	s_mul_hi_u32 s3, s2, s3
	s_add_i32 s2, s2, s3
	s_delay_alu instid0(SALU_CYCLE_1) | instskip(NEXT) | instid1(SALU_CYCLE_1)
	s_mul_hi_u32 s2, s15, s2
	s_mul_i32 s3, s2, s14
	s_add_i32 s12, s2, 1
	s_sub_i32 s3, s15, s3
	s_delay_alu instid0(SALU_CYCLE_1)
	s_sub_i32 s13, s3, s14
	s_cmp_ge_u32 s3, s14
	s_cselect_b32 s2, s12, s2
	s_cselect_b32 s3, s13, s3
	s_add_i32 s12, s2, 1
	s_cmp_ge_u32 s3, s14
	s_mov_b32 s3, 0
	s_cselect_b32 s2, s12, s2
.LBB37_3:
	s_load_b64 s[12:13], s[0:1], 0x8
	s_mul_i32 s14, s2, s14
	s_delay_alu instid0(SALU_CYCLE_1) | instskip(NEXT) | instid1(SALU_CYCLE_1)
	s_sub_i32 s16, s15, s14
	s_ashr_i32 s17, s16, 31
	s_delay_alu instid0(SALU_CYCLE_1) | instskip(SKIP_1) | instid1(SALU_CYCLE_1)
	s_or_b64 s[18:19], s[16:17], s[10:11]
	s_mov_b32 s18, 0
	s_cmp_lg_u64 s[18:19], 0
	s_cbranch_scc0 .LBB37_37
; %bb.4:
	s_ashr_i32 s20, s11, 31
	s_delay_alu instid0(SALU_CYCLE_1) | instskip(SKIP_2) | instid1(SALU_CYCLE_1)
	s_add_u32 s22, s10, s20
	s_mov_b32 s21, s20
	s_addc_u32 s23, s11, s20
	s_xor_b64 s[22:23], s[22:23], s[20:21]
	s_delay_alu instid0(SALU_CYCLE_1) | instskip(SKIP_3) | instid1(VALU_DEP_1)
	v_cvt_f32_u32_e32 v1, s22
	v_cvt_f32_u32_e32 v2, s23
	s_sub_u32 s25, 0, s22
	s_subb_u32 s26, 0, s23
	v_fmamk_f32 v1, v2, 0x4f800000, v1
	s_delay_alu instid0(VALU_DEP_1) | instskip(SKIP_2) | instid1(VALU_DEP_1)
	v_rcp_f32_e32 v1, v1
	s_waitcnt_depctr 0xfff
	v_mul_f32_e32 v1, 0x5f7ffffc, v1
	v_mul_f32_e32 v2, 0x2f800000, v1
	s_delay_alu instid0(VALU_DEP_1) | instskip(NEXT) | instid1(VALU_DEP_1)
	v_trunc_f32_e32 v2, v2
	v_fmamk_f32 v1, v2, 0xcf800000, v1
	v_cvt_u32_f32_e32 v2, v2
	s_delay_alu instid0(VALU_DEP_2) | instskip(NEXT) | instid1(VALU_DEP_2)
	v_cvt_u32_f32_e32 v1, v1
	v_readfirstlane_b32 s14, v2
	s_delay_alu instid0(VALU_DEP_2) | instskip(NEXT) | instid1(VALU_DEP_2)
	v_readfirstlane_b32 s19, v1
	s_mul_i32 s24, s25, s14
	s_delay_alu instid0(VALU_DEP_1)
	s_mul_hi_u32 s28, s25, s19
	s_mul_i32 s27, s26, s19
	s_add_i32 s24, s28, s24
	s_mul_i32 s29, s25, s19
	s_add_i32 s24, s24, s27
	s_mul_hi_u32 s28, s19, s29
	s_mul_hi_u32 s30, s14, s29
	s_mul_i32 s27, s14, s29
	s_mul_hi_u32 s29, s19, s24
	s_mul_i32 s19, s19, s24
	s_mul_hi_u32 s31, s14, s24
	s_add_u32 s19, s28, s19
	s_addc_u32 s28, 0, s29
	s_add_u32 s19, s19, s27
	s_mul_i32 s24, s14, s24
	s_addc_u32 s19, s28, s30
	s_addc_u32 s27, s31, 0
	s_add_u32 s19, s19, s24
	s_addc_u32 s24, 0, s27
	v_add_co_u32 v1, s19, v1, s19
	s_delay_alu instid0(VALU_DEP_1) | instskip(SKIP_1) | instid1(VALU_DEP_1)
	s_cmp_lg_u32 s19, 0
	s_addc_u32 s14, s14, s24
	v_readfirstlane_b32 s19, v1
	s_mul_i32 s27, s25, s14
	s_mov_b32 s24, s17
	s_delay_alu instid0(VALU_DEP_1)
	s_mul_hi_u32 s28, s25, s19
	s_mul_i32 s26, s26, s19
	s_add_i32 s27, s28, s27
	s_mul_i32 s25, s25, s19
	s_add_i32 s27, s27, s26
	s_mul_hi_u32 s28, s14, s25
	s_mul_i32 s29, s14, s25
	s_mul_hi_u32 s25, s19, s25
	s_mul_hi_u32 s30, s19, s27
	s_mul_i32 s19, s19, s27
	s_mul_hi_u32 s26, s14, s27
	s_add_u32 s19, s25, s19
	s_addc_u32 s25, 0, s30
	s_add_u32 s19, s19, s29
	s_mul_i32 s27, s14, s27
	s_addc_u32 s19, s25, s28
	s_addc_u32 s25, s26, 0
	s_add_u32 s19, s19, s27
	s_addc_u32 s26, 0, s25
	v_add_co_u32 v1, s19, v1, s19
	s_delay_alu instid0(VALU_DEP_1)
	s_cmp_lg_u32 s19, 0
	s_mov_b32 s25, s17
	s_addc_u32 s14, s14, s26
	s_add_u32 s26, s16, s17
	v_readfirstlane_b32 s19, v1
	s_addc_u32 s27, s17, s17
	s_delay_alu instid0(SALU_CYCLE_1) | instskip(NEXT) | instid1(SALU_CYCLE_1)
	s_xor_b64 s[26:27], s[26:27], s[24:25]
	s_mul_i32 s29, s26, s14
	s_delay_alu instid0(VALU_DEP_1)
	s_mul_hi_u32 s30, s26, s19
	s_mul_hi_u32 s28, s26, s14
	;; [unrolled: 1-line block ×3, first 2 shown]
	s_mul_i32 s19, s27, s19
	s_add_u32 s29, s30, s29
	s_addc_u32 s28, 0, s28
	s_mul_hi_u32 s31, s27, s14
	s_add_u32 s19, s29, s19
	s_mul_i32 s14, s27, s14
	s_addc_u32 s19, s28, s33
	s_addc_u32 s28, s31, 0
	s_add_u32 s14, s19, s14
	s_addc_u32 s19, 0, s28
	s_mul_i32 s31, s22, s14
	s_mul_hi_u32 s28, s22, s14
	s_mul_i32 s30, s22, s19
	v_sub_co_u32 v1, s26, s26, s31
	s_mul_i32 s29, s23, s14
	s_add_i32 s28, s28, s30
	s_delay_alu instid0(SALU_CYCLE_1) | instskip(NEXT) | instid1(VALU_DEP_1)
	s_add_i32 s28, s28, s29
	v_sub_co_u32 v2, s30, v1, s22
	s_sub_i32 s29, s27, s28
	s_cmp_lg_u32 s26, 0
	s_subb_u32 s29, s29, s23
	s_cmp_lg_u32 s30, 0
	v_readfirstlane_b32 s30, v2
	s_subb_u32 s29, s29, 0
	s_delay_alu instid0(SALU_CYCLE_1) | instskip(SKIP_1) | instid1(VALU_DEP_1)
	s_cmp_ge_u32 s29, s23
	s_cselect_b32 s31, -1, 0
	s_cmp_ge_u32 s30, s22
	s_cselect_b32 s30, -1, 0
	s_cmp_eq_u32 s29, s23
	s_cselect_b32 s29, s30, s31
	s_add_u32 s30, s14, 1
	s_addc_u32 s31, s19, 0
	s_add_u32 s33, s14, 2
	s_addc_u32 s34, s19, 0
	s_cmp_lg_u32 s29, 0
	s_cselect_b32 s29, s33, s30
	s_cselect_b32 s30, s34, s31
	s_cmp_lg_u32 s26, 0
	v_readfirstlane_b32 s26, v1
	s_subb_u32 s27, s27, s28
	s_delay_alu instid0(SALU_CYCLE_1) | instskip(SKIP_1) | instid1(VALU_DEP_1)
	s_cmp_ge_u32 s27, s23
	s_cselect_b32 s28, -1, 0
	s_cmp_ge_u32 s26, s22
	s_cselect_b32 s22, -1, 0
	s_cmp_eq_u32 s27, s23
	s_cselect_b32 s22, s22, s28
	s_delay_alu instid0(SALU_CYCLE_1) | instskip(SKIP_3) | instid1(SALU_CYCLE_1)
	s_cmp_lg_u32 s22, 0
	s_cselect_b32 s23, s30, s19
	s_cselect_b32 s22, s29, s14
	s_xor_b64 s[20:21], s[24:25], s[20:21]
	s_xor_b64 s[22:23], s[22:23], s[20:21]
	s_delay_alu instid0(SALU_CYCLE_1)
	s_sub_u32 s20, s22, s20
	s_subb_u32 s21, s23, s21
	s_and_not1_b32 vcc_lo, exec_lo, s18
	s_cbranch_vccnz .LBB37_6
.LBB37_5:
	v_cvt_f32_u32_e32 v1, s10
	s_sub_i32 s18, 0, s10
	s_mov_b32 s21, 0
	s_delay_alu instid0(VALU_DEP_1) | instskip(SKIP_2) | instid1(VALU_DEP_1)
	v_rcp_iflag_f32_e32 v1, v1
	s_waitcnt_depctr 0xfff
	v_mul_f32_e32 v1, 0x4f7ffffe, v1
	v_cvt_u32_f32_e32 v1, v1
	s_delay_alu instid0(VALU_DEP_1) | instskip(NEXT) | instid1(VALU_DEP_1)
	v_readfirstlane_b32 s14, v1
	s_mul_i32 s18, s18, s14
	s_delay_alu instid0(SALU_CYCLE_1) | instskip(NEXT) | instid1(SALU_CYCLE_1)
	s_mul_hi_u32 s18, s14, s18
	s_add_i32 s14, s14, s18
	s_delay_alu instid0(SALU_CYCLE_1) | instskip(NEXT) | instid1(SALU_CYCLE_1)
	s_mul_hi_u32 s14, s16, s14
	s_mul_i32 s18, s14, s10
	s_add_i32 s19, s14, 1
	s_sub_i32 s18, s16, s18
	s_delay_alu instid0(SALU_CYCLE_1)
	s_sub_i32 s20, s18, s10
	s_cmp_ge_u32 s18, s10
	s_cselect_b32 s14, s19, s14
	s_cselect_b32 s18, s20, s18
	s_add_i32 s19, s14, 1
	s_cmp_ge_u32 s18, s10
	s_cselect_b32 s20, s19, s14
.LBB37_6:
	s_delay_alu instid0(SALU_CYCLE_1)
	s_mul_i32 s11, s20, s11
	s_mul_hi_u32 s14, s20, s10
	s_mul_i32 s9, s2, s9
	s_add_i32 s11, s14, s11
	s_mul_i32 s14, s21, s10
	s_mul_i32 s10, s20, s10
	s_add_i32 s11, s11, s14
	s_sub_u32 s14, s16, s10
	s_subb_u32 s16, s17, s11
	s_mul_hi_u32 s17, s2, s8
	s_bfe_i64 s[10:11], s[2:3], 0x200000
	s_add_i32 s3, s17, s9
	s_mul_i32 s9, s11, s8
	s_mul_i32 s2, s2, s8
	s_add_i32 s3, s3, s9
	s_bfe_i64 s[10:11], s[20:21], 0x200000
	s_lshl_b64 s[8:9], s[2:3], 1
	s_clause 0x1
	s_load_b32 s3, s[0:1], 0x48
	s_load_b32 s17, s[0:1], 0x5c
	s_mul_i32 s2, s20, s7
	s_mul_hi_u32 s7, s20, s6
	s_mul_i32 s16, s16, s4
	s_add_i32 s2, s7, s2
	s_mul_i32 s7, s11, s6
	s_mul_i32 s6, s20, s6
	s_add_i32 s7, s2, s7
	s_mul_i32 s2, s14, s5
	s_mul_hi_u32 s5, s14, s4
	s_waitcnt lgkmcnt(0)
	s_add_u32 s10, s12, s8
	s_add_i32 s2, s5, s2
	s_lshl_b64 s[6:7], s[6:7], 1
	s_add_i32 s5, s2, s16
	s_mul_i32 s4, s14, s4
	s_add_u32 s2, s10, s6
	s_lshl_b64 s[4:5], s[4:5], 1
	s_mov_b32 s11, 0
	s_add_u32 s2, s2, s4
	s_delay_alu instid0(SALU_CYCLE_1) | instskip(SKIP_4) | instid1(SALU_CYCLE_1)
	s_and_b32 s10, s2, 7
	s_and_b32 s14, s17, 0xffff
	s_cmp_lg_u64 s[10:11], 0
	s_cselect_b32 s10, -1, 0
	s_and_b32 s11, s3, 3
	s_cmp_lg_u32 s11, 0
	s_cselect_b32 s11, -1, 0
	s_delay_alu instid0(SALU_CYCLE_1) | instskip(NEXT) | instid1(SALU_CYCLE_1)
	s_or_b32 s10, s11, s10
	s_and_b32 vcc_lo, exec_lo, s10
	s_cbranch_vccz .LBB37_20
; %bb.7:
	s_sub_i32 s2, 0, s2
	v_mov_b32_e32 v4, 0
	s_bfe_u32 s2, s2, 0x20001
	s_mov_b32 s11, exec_lo
	s_min_i32 s10, s2, s3
	s_delay_alu instid0(SALU_CYCLE_1)
	v_cmpx_gt_i32_e64 s10, v0
	s_cbranch_execz .LBB37_11
; %bb.8:
	s_add_u32 s2, s4, s8
	s_addc_u32 s16, s5, s9
	v_dual_mov_b32 v4, 0 :: v_dual_lshlrev_b32 v1, 1, v0
	s_add_u32 s2, s2, s6
	s_addc_u32 s16, s16, s7
	s_add_u32 s2, s12, s2
	s_addc_u32 s16, s13, s16
	v_add_co_u32 v1, s2, s2, v1
	s_delay_alu instid0(VALU_DEP_1)
	v_add_co_ci_u32_e64 v2, null, s16, 0, s2
	v_mov_b32_e32 v3, v0
	s_mov_b32 s16, 0
	s_lshl_b32 s17, s14, 1
.LBB37_9:                               ; =>This Inner Loop Header: Depth=1
	global_load_u16 v5, v[1:2], off
	v_add_nc_u32_e32 v3, s14, v3
	v_add_co_u32 v1, vcc_lo, v1, s17
	v_add_co_ci_u32_e32 v2, vcc_lo, 0, v2, vcc_lo
	s_delay_alu instid0(VALU_DEP_3) | instskip(NEXT) | instid1(VALU_DEP_1)
	v_cmp_le_i32_e64 s2, s10, v3
	s_or_b32 s16, s2, s16
	s_waitcnt vmcnt(0)
	v_fma_mix_f32 v4, v5, v5, v4 op_sel_hi:[1,1,0]
	s_and_not1_b32 exec_lo, exec_lo, s16
	s_cbranch_execnz .LBB37_9
; %bb.10:
	s_or_b32 exec_lo, exec_lo, s16
.LBB37_11:
	s_delay_alu instid0(SALU_CYCLE_1)
	s_or_b32 exec_lo, exec_lo, s11
	s_sub_i32 s16, s3, s10
	s_ashr_i32 s11, s10, 31
	s_ashr_i32 s2, s16, 31
	s_mov_b32 s18, exec_lo
	s_lshr_b32 s2, s2, 30
	s_delay_alu instid0(SALU_CYCLE_1) | instskip(NEXT) | instid1(SALU_CYCLE_1)
	s_add_i32 s2, s16, s2
	s_ashr_i32 s17, s2, 2
	s_delay_alu instid0(SALU_CYCLE_1)
	v_cmpx_gt_i32_e64 s17, v0
	s_cbranch_execz .LBB37_15
; %bb.12:
	s_add_u32 s2, s4, s8
	s_addc_u32 s19, s5, s9
	s_add_u32 s2, s2, s6
	s_addc_u32 s19, s19, s7
	s_lshl_b64 s[20:21], s[10:11], 1
	v_lshlrev_b32_e32 v1, 3, v0
	s_add_u32 s20, s12, s20
	s_addc_u32 s21, s13, s21
	s_add_u32 s2, s20, s2
	s_addc_u32 s19, s21, s19
	v_add_co_u32 v1, s2, s2, v1
	s_delay_alu instid0(VALU_DEP_1)
	v_add_co_ci_u32_e64 v2, null, s19, 0, s2
	v_mov_b32_e32 v3, v0
	s_mov_b32 s19, 0
	s_lshl_b32 s20, s14, 3
	.p2align	6
.LBB37_13:                              ; =>This Inner Loop Header: Depth=1
	global_load_b64 v[5:6], v[1:2], off
	v_add_nc_u32_e32 v3, s14, v3
	v_add_co_u32 v1, vcc_lo, v1, s20
	v_add_co_ci_u32_e32 v2, vcc_lo, 0, v2, vcc_lo
	s_delay_alu instid0(VALU_DEP_3) | instskip(NEXT) | instid1(VALU_DEP_1)
	v_cmp_le_i32_e64 s2, s17, v3
	s_or_b32 s19, s2, s19
	s_waitcnt vmcnt(0)
	v_fma_mix_f32 v4, v5, v5, v4 op_sel_hi:[1,1,0]
	s_delay_alu instid0(VALU_DEP_1) | instskip(NEXT) | instid1(VALU_DEP_1)
	v_fma_mix_f32 v4, v5, v5, v4 op_sel:[1,1,0] op_sel_hi:[1,1,0]
	v_fma_mix_f32 v4, v6, v6, v4 op_sel_hi:[1,1,0]
	s_delay_alu instid0(VALU_DEP_1)
	v_fma_mix_f32 v4, v6, v6, v4 op_sel:[1,1,0] op_sel_hi:[1,1,0]
	s_and_not1_b32 exec_lo, exec_lo, s19
	s_cbranch_execnz .LBB37_13
; %bb.14:
	s_or_b32 exec_lo, exec_lo, s19
.LBB37_15:
	s_delay_alu instid0(SALU_CYCLE_1) | instskip(SKIP_2) | instid1(VALU_DEP_1)
	s_or_b32 exec_lo, exec_lo, s18
	v_lshl_add_u32 v1, s17, 2, v0
	s_mov_b32 s17, exec_lo
	v_cmpx_gt_i32_e64 s16, v1
	s_cbranch_execz .LBB37_19
; %bb.16:
	v_ashrrev_i32_e32 v2, 31, v1
	s_add_u32 s2, s4, s8
	s_addc_u32 s18, s5, s9
	s_add_u32 s2, s2, s6
	s_addc_u32 s18, s18, s7
	s_lshl_b64 s[10:11], s[10:11], 1
	v_lshlrev_b64 v[2:3], 1, v[1:2]
	s_add_u32 s2, s2, s10
	s_addc_u32 s10, s18, s11
	s_add_u32 s2, s12, s2
	s_addc_u32 s10, s13, s10
	s_lshl_b32 s11, s14, 1
	v_add_co_u32 v2, vcc_lo, s2, v2
	v_add_co_ci_u32_e32 v3, vcc_lo, s10, v3, vcc_lo
	s_mov_b32 s10, 0
.LBB37_17:                              ; =>This Inner Loop Header: Depth=1
	global_load_u16 v5, v[2:3], off
	v_add_nc_u32_e32 v1, s14, v1
	v_add_co_u32 v2, vcc_lo, v2, s11
	v_add_co_ci_u32_e32 v3, vcc_lo, 0, v3, vcc_lo
	s_delay_alu instid0(VALU_DEP_3) | instskip(NEXT) | instid1(VALU_DEP_1)
	v_cmp_le_i32_e64 s2, s16, v1
	s_or_b32 s10, s2, s10
	s_waitcnt vmcnt(0)
	v_fma_mix_f32 v4, v5, v5, v4 op_sel_hi:[1,1,0]
	s_and_not1_b32 exec_lo, exec_lo, s10
	s_cbranch_execnz .LBB37_17
; %bb.18:
	s_or_b32 exec_lo, exec_lo, s10
.LBB37_19:
	s_delay_alu instid0(SALU_CYCLE_1)
	s_or_b32 exec_lo, exec_lo, s17
	s_branch .LBB37_26
.LBB37_20:
                                        ; implicit-def: $vgpr4
	s_cbranch_execz .LBB37_26
; %bb.21:
	v_mov_b32_e32 v4, 0
	s_ashr_i32 s11, s3, 2
	s_mov_b32 s10, exec_lo
	v_cmpx_gt_i32_e64 s11, v0
	s_cbranch_execz .LBB37_25
; %bb.22:
	s_add_u32 s2, s4, s8
	s_addc_u32 s16, s5, s9
	v_dual_mov_b32 v4, 0 :: v_dual_lshlrev_b32 v1, 3, v0
	s_add_u32 s2, s2, s6
	s_addc_u32 s16, s16, s7
	s_add_u32 s2, s12, s2
	s_addc_u32 s16, s13, s16
	v_add_co_u32 v1, s2, s2, v1
	s_delay_alu instid0(VALU_DEP_1)
	v_add_co_ci_u32_e64 v2, null, s16, 0, s2
	v_mov_b32_e32 v3, v0
	s_mov_b32 s16, 0
	s_lshl_b32 s17, s14, 3
	.p2align	6
.LBB37_23:                              ; =>This Inner Loop Header: Depth=1
	global_load_b64 v[5:6], v[1:2], off
	v_add_nc_u32_e32 v3, s14, v3
	v_add_co_u32 v1, vcc_lo, v1, s17
	v_add_co_ci_u32_e32 v2, vcc_lo, 0, v2, vcc_lo
	s_delay_alu instid0(VALU_DEP_3) | instskip(NEXT) | instid1(VALU_DEP_1)
	v_cmp_le_i32_e64 s2, s11, v3
	s_or_b32 s16, s2, s16
	s_waitcnt vmcnt(0)
	v_fma_mix_f32 v4, v5, v5, v4 op_sel_hi:[1,1,0]
	s_delay_alu instid0(VALU_DEP_1) | instskip(NEXT) | instid1(VALU_DEP_1)
	v_fma_mix_f32 v4, v5, v5, v4 op_sel:[1,1,0] op_sel_hi:[1,1,0]
	v_fma_mix_f32 v4, v6, v6, v4 op_sel_hi:[1,1,0]
	s_delay_alu instid0(VALU_DEP_1)
	v_fma_mix_f32 v4, v6, v6, v4 op_sel:[1,1,0] op_sel_hi:[1,1,0]
	s_and_not1_b32 exec_lo, exec_lo, s16
	s_cbranch_execnz .LBB37_23
; %bb.24:
	s_or_b32 exec_lo, exec_lo, s16
.LBB37_25:
	s_delay_alu instid0(SALU_CYCLE_1)
	s_or_b32 exec_lo, exec_lo, s10
.LBB37_26:
	v_mbcnt_lo_u32_b32 v1, -1, 0
	v_and_b32_e32 v3, 0x3e0, v0
	s_mov_b32 s2, exec_lo
	s_delay_alu instid0(VALU_DEP_2) | instskip(NEXT) | instid1(VALU_DEP_2)
	v_cmp_ne_u32_e32 vcc_lo, 31, v1
	v_sub_nc_u32_e64 v12, s14, v3 clamp
	v_add_nc_u32_e32 v3, 1, v1
	v_add_co_ci_u32_e32 v2, vcc_lo, 0, v1, vcc_lo
	v_cmp_gt_u32_e32 vcc_lo, 30, v1
	s_delay_alu instid0(VALU_DEP_2)
	v_lshlrev_b32_e32 v2, 2, v2
	v_cndmask_b32_e64 v6, 0, 1, vcc_lo
	v_cmp_lt_u32_e32 vcc_lo, v3, v12
	ds_bpermute_b32 v5, v2, v4
	s_waitcnt lgkmcnt(0)
	v_dual_add_f32 v7, v4, v5 :: v_dual_lshlrev_b32 v6, 1, v6
	s_delay_alu instid0(VALU_DEP_1) | instskip(NEXT) | instid1(VALU_DEP_2)
	v_cndmask_b32_e32 v7, v4, v7, vcc_lo
	v_add_lshl_u32 v5, v6, v1, 2
	v_cmp_gt_u32_e32 vcc_lo, 28, v1
	ds_bpermute_b32 v6, v5, v7
	v_cndmask_b32_e64 v4, 0, 1, vcc_lo
	s_delay_alu instid0(VALU_DEP_1) | instskip(SKIP_1) | instid1(VALU_DEP_1)
	v_lshlrev_b32_e32 v8, 2, v4
	v_add_nc_u32_e32 v4, 2, v1
	v_cmp_lt_u32_e32 vcc_lo, v4, v12
	s_waitcnt lgkmcnt(0)
	v_add_f32_e32 v9, v7, v6
	v_add_lshl_u32 v6, v8, v1, 2
	s_delay_alu instid0(VALU_DEP_2) | instskip(SKIP_2) | instid1(VALU_DEP_1)
	v_cndmask_b32_e32 v9, v7, v9, vcc_lo
	v_cmp_gt_u32_e32 vcc_lo, 24, v1
	v_cndmask_b32_e64 v7, 0, 1, vcc_lo
	v_lshlrev_b32_e32 v10, 3, v7
	ds_bpermute_b32 v8, v6, v9
	v_add_nc_u32_e32 v7, 4, v1
	s_delay_alu instid0(VALU_DEP_1) | instskip(SKIP_3) | instid1(VALU_DEP_2)
	v_cmp_lt_u32_e32 vcc_lo, v7, v12
	s_waitcnt lgkmcnt(0)
	v_add_f32_e32 v11, v9, v8
	v_add_lshl_u32 v8, v10, v1, 2
	v_cndmask_b32_e32 v11, v9, v11, vcc_lo
	v_cmp_gt_u32_e32 vcc_lo, 16, v1
	ds_bpermute_b32 v10, v8, v11
	v_cndmask_b32_e64 v9, 0, 1, vcc_lo
	s_delay_alu instid0(VALU_DEP_1) | instskip(SKIP_1) | instid1(VALU_DEP_1)
	v_lshlrev_b32_e32 v13, 4, v9
	v_add_nc_u32_e32 v9, 8, v1
	v_cmp_lt_u32_e32 vcc_lo, v9, v12
	s_waitcnt lgkmcnt(0)
	v_add_f32_e32 v14, v11, v10
	v_add_lshl_u32 v10, v13, v1, 2
	s_delay_alu instid0(VALU_DEP_2)
	v_cndmask_b32_e32 v13, v11, v14, vcc_lo
	v_add_nc_u32_e32 v11, 16, v1
	ds_bpermute_b32 v14, v10, v13
	v_cmp_lt_u32_e32 vcc_lo, v11, v12
	s_waitcnt lgkmcnt(0)
	v_add_f32_e32 v14, v13, v14
	s_delay_alu instid0(VALU_DEP_1)
	v_cndmask_b32_e32 v12, v13, v14, vcc_lo
	v_cmpx_eq_u32_e32 0, v1
	s_cbranch_execz .LBB37_28
; %bb.27:
	v_lshrrev_b32_e32 v13, 3, v0
	s_delay_alu instid0(VALU_DEP_1)
	v_and_b32_e32 v13, 0x7c, v13
	ds_store_b32 v13, v12
.LBB37_28:
	s_or_b32 exec_lo, exec_lo, s2
	s_delay_alu instid0(SALU_CYCLE_1)
	s_mov_b32 s2, exec_lo
	s_waitcnt lgkmcnt(0)
	s_barrier
	buffer_gl0_inv
	v_cmpx_gt_u32_e32 32, v0
	s_cbranch_execz .LBB37_30
; %bb.29:
	v_lshlrev_b32_e32 v1, 2, v1
	s_add_i32 s10, s14, 31
	s_delay_alu instid0(SALU_CYCLE_1) | instskip(NEXT) | instid1(SALU_CYCLE_1)
	s_lshr_b32 s10, s10, 5
	v_cmp_gt_u32_e32 vcc_lo, s10, v3
	ds_load_b32 v1, v1
	s_waitcnt lgkmcnt(0)
	ds_bpermute_b32 v2, v2, v1
	s_waitcnt lgkmcnt(0)
	v_add_f32_e32 v2, v1, v2
	s_delay_alu instid0(VALU_DEP_1) | instskip(SKIP_4) | instid1(VALU_DEP_1)
	v_cndmask_b32_e32 v1, v1, v2, vcc_lo
	v_cmp_gt_u32_e32 vcc_lo, s10, v4
	ds_bpermute_b32 v2, v5, v1
	s_waitcnt lgkmcnt(0)
	v_add_f32_e32 v2, v1, v2
	v_cndmask_b32_e32 v1, v1, v2, vcc_lo
	v_cmp_gt_u32_e32 vcc_lo, s10, v7
	ds_bpermute_b32 v2, v6, v1
	s_waitcnt lgkmcnt(0)
	v_add_f32_e32 v2, v1, v2
	s_delay_alu instid0(VALU_DEP_1) | instskip(SKIP_4) | instid1(VALU_DEP_1)
	v_cndmask_b32_e32 v1, v1, v2, vcc_lo
	v_cmp_gt_u32_e32 vcc_lo, s10, v9
	ds_bpermute_b32 v2, v8, v1
	s_waitcnt lgkmcnt(0)
	v_add_f32_e32 v2, v1, v2
	v_cndmask_b32_e32 v1, v1, v2, vcc_lo
	v_cmp_gt_u32_e32 vcc_lo, s10, v11
	ds_bpermute_b32 v2, v10, v1
	s_waitcnt lgkmcnt(0)
	v_add_f32_e32 v2, v1, v2
	s_delay_alu instid0(VALU_DEP_1)
	v_cndmask_b32_e32 v12, v1, v2, vcc_lo
.LBB37_30:
	s_or_b32 exec_lo, exec_lo, s2
	s_delay_alu instid0(SALU_CYCLE_1)
	s_mov_b32 s2, exec_lo
	v_cmpx_eq_u32_e32 0, v0
	s_cbranch_execz .LBB37_32
; %bb.31:
	v_cvt_f32_i32_e32 v1, s3
	s_load_b32 s10, s[0:1], 0x40
	s_delay_alu instid0(VALU_DEP_1) | instskip(SKIP_1) | instid1(VALU_DEP_2)
	v_div_scale_f32 v2, null, v1, v1, v12
	v_div_scale_f32 v5, vcc_lo, v12, v1, v12
	v_rcp_f32_e32 v3, v2
	s_waitcnt_depctr 0xfff
	v_fma_f32 v4, -v2, v3, 1.0
	s_delay_alu instid0(VALU_DEP_1) | instskip(NEXT) | instid1(VALU_DEP_1)
	v_fmac_f32_e32 v3, v4, v3
	v_mul_f32_e32 v4, v5, v3
	s_delay_alu instid0(VALU_DEP_1) | instskip(NEXT) | instid1(VALU_DEP_1)
	v_fma_f32 v6, -v2, v4, v5
	v_fmac_f32_e32 v4, v6, v3
	s_delay_alu instid0(VALU_DEP_1) | instskip(NEXT) | instid1(VALU_DEP_1)
	v_fma_f32 v2, -v2, v4, v5
	v_div_fmas_f32 v2, v2, v3, v4
	s_delay_alu instid0(VALU_DEP_1) | instskip(SKIP_1) | instid1(VALU_DEP_1)
	v_div_fixup_f32 v1, v2, v1, v12
	s_waitcnt lgkmcnt(0)
	v_add_f32_e32 v1, s10, v1
	s_delay_alu instid0(VALU_DEP_1) | instskip(SKIP_1) | instid1(VALU_DEP_2)
	v_mul_f32_e32 v2, 0x4b800000, v1
	v_cmp_gt_f32_e32 vcc_lo, 0x800000, v1
	v_cndmask_b32_e32 v1, v1, v2, vcc_lo
	s_delay_alu instid0(VALU_DEP_1) | instskip(SKIP_2) | instid1(VALU_DEP_1)
	v_rsq_f32_e32 v1, v1
	s_waitcnt_depctr 0xfff
	v_mul_f32_e32 v2, 0x45800000, v1
	v_dual_cndmask_b32 v1, v1, v2 :: v_dual_mov_b32 v2, 0
	ds_store_b32 v2, v1 offset:128
.LBB37_32:
	s_or_b32 exec_lo, exec_lo, s2
	s_ashr_i32 s2, s3, 31
	s_waitcnt lgkmcnt(0)
	s_lshr_b32 s2, s2, 30
	s_barrier
	s_add_i32 s2, s3, s2
	buffer_gl0_inv
	s_ashr_i32 s10, s2, 2
	s_mov_b32 s2, exec_lo
	v_cmpx_gt_i32_e64 s10, v0
	s_cbranch_execz .LBB37_35
; %bb.33:
	s_clause 0x1
	s_load_b64 s[16:17], s[0:1], 0x0
	s_load_b64 s[18:19], s[0:1], 0x38
	v_dual_mov_b32 v1, 0 :: v_dual_lshlrev_b32 v2, 3, v0
	s_mul_i32 s0, s15, s3
	s_mov_b32 s1, 0
	s_delay_alu instid0(SALU_CYCLE_1) | instskip(SKIP_4) | instid1(VALU_DEP_1)
	s_lshl_b64 s[2:3], s[0:1], 1
	ds_load_b32 v1, v1 offset:128
	s_waitcnt lgkmcnt(0)
	s_add_u32 s2, s16, s2
	v_add_co_u32 v6, s0, v2, s18
	v_add_co_ci_u32_e64 v7, null, 0, s19, s0
	s_addc_u32 s3, s17, s3
	s_lshl_b32 s0, s14, 3
	s_add_u32 s4, s4, s8
	s_addc_u32 s5, s5, s9
	s_add_u32 s4, s4, s6
	s_addc_u32 s5, s5, s7
	;; [unrolled: 2-line block ×3, first 2 shown]
	v_add_co_u32 v4, s4, s4, v2
	s_delay_alu instid0(VALU_DEP_1) | instskip(SKIP_1) | instid1(VALU_DEP_3)
	v_add_co_ci_u32_e64 v5, null, s5, 0, s4
	v_add_co_u32 v2, s2, s2, v2
	v_add_co_u32 v4, vcc_lo, v4, 4
	s_delay_alu instid0(VALU_DEP_3)
	v_add_co_ci_u32_e32 v5, vcc_lo, 0, v5, vcc_lo
	v_add_co_u32 v6, vcc_lo, v6, 4
	v_add_co_ci_u32_e64 v3, null, s3, 0, s2
	v_add_co_ci_u32_e32 v7, vcc_lo, 0, v7, vcc_lo
	s_mov_b64 s[2:3], 0
	s_set_inst_prefetch_distance 0x1
	.p2align	6
.LBB37_34:                              ; =>This Inner Loop Header: Depth=1
	v_add_co_u32 v8, vcc_lo, v4, s2
	v_add_co_ci_u32_e32 v9, vcc_lo, s3, v5, vcc_lo
	v_add_co_u32 v10, vcc_lo, v6, s2
	v_add_co_ci_u32_e32 v11, vcc_lo, s3, v7, vcc_lo
	global_load_b64 v[8:9], v[8:9], off offset:-4
	v_add_nc_u32_e32 v0, s14, v0
	v_add_co_u32 v12, vcc_lo, v2, s2
	global_load_b64 v[10:11], v[10:11], off offset:-4
	v_add_co_ci_u32_e32 v13, vcc_lo, s3, v3, vcc_lo
	v_cmp_le_i32_e32 vcc_lo, s10, v0
	s_add_u32 s2, s2, s0
	s_addc_u32 s3, s3, 0
	s_or_b32 s1, vcc_lo, s1
	s_waitcnt vmcnt(1)
	v_fma_mixlo_f16 v14, v1, v8, 0 op_sel_hi:[0,1,0]
	v_fma_mixlo_f16 v15, v1, v9, 0 op_sel_hi:[0,1,0]
	s_delay_alu instid0(VALU_DEP_2) | instskip(NEXT) | instid1(VALU_DEP_2)
	v_fma_mixhi_f16 v14, v1, v8, 0 op_sel:[0,1,0] op_sel_hi:[0,1,0]
	v_fma_mixhi_f16 v15, v1, v9, 0 op_sel:[0,1,0] op_sel_hi:[0,1,0]
	s_waitcnt vmcnt(0)
	s_delay_alu instid0(VALU_DEP_2) | instskip(NEXT) | instid1(VALU_DEP_2)
	v_pk_mul_f16 v8, v10, v14
	v_pk_mul_f16 v9, v11, v15
	global_store_b64 v[12:13], v[8:9], off
	s_and_not1_b32 exec_lo, exec_lo, s1
	s_cbranch_execnz .LBB37_34
.LBB37_35:
	s_set_inst_prefetch_distance 0x2
	s_nop 0
	s_sendmsg sendmsg(MSG_DEALLOC_VGPRS)
	s_endpgm
.LBB37_36:
                                        ; implicit-def: $sgpr2_sgpr3
	s_branch .LBB37_2
.LBB37_37:
                                        ; implicit-def: $sgpr20_sgpr21
	s_branch .LBB37_5
	.section	.rodata,"a",@progbits
	.p2align	6, 0x0
	.amdhsa_kernel _ZN4vllm15rms_norm_kernelIN3c104HalfELi4ELi4EEEvPT_PKS3_lllllS6_fii
		.amdhsa_group_segment_fixed_size 132
		.amdhsa_private_segment_fixed_size 0
		.amdhsa_kernarg_size 336
		.amdhsa_user_sgpr_count 15
		.amdhsa_user_sgpr_dispatch_ptr 0
		.amdhsa_user_sgpr_queue_ptr 0
		.amdhsa_user_sgpr_kernarg_segment_ptr 1
		.amdhsa_user_sgpr_dispatch_id 0
		.amdhsa_user_sgpr_private_segment_size 0
		.amdhsa_wavefront_size32 1
		.amdhsa_uses_dynamic_stack 0
		.amdhsa_enable_private_segment 0
		.amdhsa_system_sgpr_workgroup_id_x 1
		.amdhsa_system_sgpr_workgroup_id_y 0
		.amdhsa_system_sgpr_workgroup_id_z 0
		.amdhsa_system_sgpr_workgroup_info 0
		.amdhsa_system_vgpr_workitem_id 0
		.amdhsa_next_free_vgpr 16
		.amdhsa_next_free_sgpr 35
		.amdhsa_reserve_vcc 1
		.amdhsa_float_round_mode_32 0
		.amdhsa_float_round_mode_16_64 0
		.amdhsa_float_denorm_mode_32 3
		.amdhsa_float_denorm_mode_16_64 3
		.amdhsa_dx10_clamp 1
		.amdhsa_ieee_mode 1
		.amdhsa_fp16_overflow 0
		.amdhsa_workgroup_processor_mode 1
		.amdhsa_memory_ordered 1
		.amdhsa_forward_progress 0
		.amdhsa_shared_vgpr_count 0
		.amdhsa_exception_fp_ieee_invalid_op 0
		.amdhsa_exception_fp_denorm_src 0
		.amdhsa_exception_fp_ieee_div_zero 0
		.amdhsa_exception_fp_ieee_overflow 0
		.amdhsa_exception_fp_ieee_underflow 0
		.amdhsa_exception_fp_ieee_inexact 0
		.amdhsa_exception_int_div_zero 0
	.end_amdhsa_kernel
	.section	.text._ZN4vllm15rms_norm_kernelIN3c104HalfELi4ELi4EEEvPT_PKS3_lllllS6_fii,"axG",@progbits,_ZN4vllm15rms_norm_kernelIN3c104HalfELi4ELi4EEEvPT_PKS3_lllllS6_fii,comdat
.Lfunc_end37:
	.size	_ZN4vllm15rms_norm_kernelIN3c104HalfELi4ELi4EEEvPT_PKS3_lllllS6_fii, .Lfunc_end37-_ZN4vllm15rms_norm_kernelIN3c104HalfELi4ELi4EEEvPT_PKS3_lllllS6_fii
                                        ; -- End function
	.section	.AMDGPU.csdata,"",@progbits
; Kernel info:
; codeLenInByte = 3676
; NumSgprs: 37
; NumVgprs: 16
; ScratchSize: 0
; MemoryBound: 0
; FloatMode: 240
; IeeeMode: 1
; LDSByteSize: 132 bytes/workgroup (compile time only)
; SGPRBlocks: 4
; VGPRBlocks: 1
; NumSGPRsForWavesPerEU: 37
; NumVGPRsForWavesPerEU: 16
; Occupancy: 16
; WaveLimiterHint : 0
; COMPUTE_PGM_RSRC2:SCRATCH_EN: 0
; COMPUTE_PGM_RSRC2:USER_SGPR: 15
; COMPUTE_PGM_RSRC2:TRAP_HANDLER: 0
; COMPUTE_PGM_RSRC2:TGID_X_EN: 1
; COMPUTE_PGM_RSRC2:TGID_Y_EN: 0
; COMPUTE_PGM_RSRC2:TGID_Z_EN: 0
; COMPUTE_PGM_RSRC2:TIDIG_COMP_CNT: 0
	.section	.text._ZN4vllm15rms_norm_kernelIN3c104HalfELi2ELi4EEEvPT_PKS3_lllllS6_fii,"axG",@progbits,_ZN4vllm15rms_norm_kernelIN3c104HalfELi2ELi4EEEvPT_PKS3_lllllS6_fii,comdat
	.protected	_ZN4vllm15rms_norm_kernelIN3c104HalfELi2ELi4EEEvPT_PKS3_lllllS6_fii ; -- Begin function _ZN4vllm15rms_norm_kernelIN3c104HalfELi2ELi4EEEvPT_PKS3_lllllS6_fii
	.globl	_ZN4vllm15rms_norm_kernelIN3c104HalfELi2ELi4EEEvPT_PKS3_lllllS6_fii
	.p2align	8
	.type	_ZN4vllm15rms_norm_kernelIN3c104HalfELi2ELi4EEEvPT_PKS3_lllllS6_fii,@function
_ZN4vllm15rms_norm_kernelIN3c104HalfELi2ELi4EEEvPT_PKS3_lllllS6_fii: ; @_ZN4vllm15rms_norm_kernelIN3c104HalfELi2ELi4EEEvPT_PKS3_lllllS6_fii
; %bb.0:
	s_clause 0x1
	s_load_b256 s[4:11], s[0:1], 0x10
	s_load_b64 s[2:3], s[0:1], 0x30
	s_waitcnt lgkmcnt(0)
	s_mul_i32 s12, s2, s11
	s_mul_hi_u32 s13, s2, s10
	s_mul_i32 s3, s3, s10
	s_add_i32 s13, s13, s12
	s_mov_b32 s12, 0
	s_add_i32 s13, s13, s3
	s_mul_i32 s14, s2, s10
	s_cmp_lg_u64 s[12:13], 0
	s_cbranch_scc0 .LBB38_35
; %bb.1:
	s_ashr_i32 s16, s13, 31
	s_delay_alu instid0(SALU_CYCLE_1) | instskip(SKIP_2) | instid1(SALU_CYCLE_1)
	s_add_u32 s2, s14, s16
	s_mov_b32 s17, s16
	s_addc_u32 s3, s13, s16
	s_xor_b64 s[2:3], s[2:3], s[16:17]
	s_delay_alu instid0(SALU_CYCLE_1) | instskip(SKIP_3) | instid1(VALU_DEP_1)
	v_cvt_f32_u32_e32 v1, s2
	v_cvt_f32_u32_e32 v2, s3
	s_sub_u32 s19, 0, s2
	s_subb_u32 s20, 0, s3
	v_fmamk_f32 v1, v2, 0x4f800000, v1
	s_delay_alu instid0(VALU_DEP_1) | instskip(SKIP_2) | instid1(VALU_DEP_1)
	v_rcp_f32_e32 v1, v1
	s_waitcnt_depctr 0xfff
	v_mul_f32_e32 v1, 0x5f7ffffc, v1
	v_mul_f32_e32 v2, 0x2f800000, v1
	s_delay_alu instid0(VALU_DEP_1) | instskip(NEXT) | instid1(VALU_DEP_1)
	v_trunc_f32_e32 v2, v2
	v_fmamk_f32 v1, v2, 0xcf800000, v1
	v_cvt_u32_f32_e32 v2, v2
	s_delay_alu instid0(VALU_DEP_2) | instskip(NEXT) | instid1(VALU_DEP_2)
	v_cvt_u32_f32_e32 v1, v1
	v_readfirstlane_b32 s13, v2
	s_delay_alu instid0(VALU_DEP_2) | instskip(NEXT) | instid1(VALU_DEP_2)
	v_readfirstlane_b32 s18, v1
	s_mul_i32 s21, s19, s13
	s_delay_alu instid0(VALU_DEP_1)
	s_mul_hi_u32 s23, s19, s18
	s_mul_i32 s22, s20, s18
	s_add_i32 s21, s23, s21
	s_mul_i32 s24, s19, s18
	s_add_i32 s21, s21, s22
	s_mul_hi_u32 s23, s18, s24
	s_mul_hi_u32 s25, s13, s24
	s_mul_i32 s22, s13, s24
	s_mul_hi_u32 s24, s18, s21
	s_mul_i32 s18, s18, s21
	s_mul_hi_u32 s26, s13, s21
	s_add_u32 s18, s23, s18
	s_addc_u32 s23, 0, s24
	s_add_u32 s18, s18, s22
	s_mul_i32 s21, s13, s21
	s_addc_u32 s18, s23, s25
	s_addc_u32 s22, s26, 0
	s_add_u32 s18, s18, s21
	s_addc_u32 s21, 0, s22
	v_add_co_u32 v1, s18, v1, s18
	s_delay_alu instid0(VALU_DEP_1) | instskip(SKIP_1) | instid1(VALU_DEP_1)
	s_cmp_lg_u32 s18, 0
	s_addc_u32 s13, s13, s21
	v_readfirstlane_b32 s18, v1
	s_mul_i32 s21, s19, s13
	s_delay_alu instid0(VALU_DEP_1)
	s_mul_hi_u32 s22, s19, s18
	s_mul_i32 s20, s20, s18
	s_add_i32 s21, s22, s21
	s_mul_i32 s19, s19, s18
	s_add_i32 s21, s21, s20
	s_mul_hi_u32 s22, s13, s19
	s_mul_i32 s23, s13, s19
	s_mul_hi_u32 s19, s18, s19
	s_mul_hi_u32 s24, s18, s21
	s_mul_i32 s18, s18, s21
	s_mul_hi_u32 s20, s13, s21
	s_add_u32 s18, s19, s18
	s_addc_u32 s19, 0, s24
	s_add_u32 s18, s18, s23
	s_mul_i32 s21, s13, s21
	s_addc_u32 s18, s19, s22
	s_addc_u32 s19, s20, 0
	s_add_u32 s18, s18, s21
	s_addc_u32 s19, 0, s19
	v_add_co_u32 v1, s18, v1, s18
	s_delay_alu instid0(VALU_DEP_1) | instskip(SKIP_1) | instid1(VALU_DEP_1)
	s_cmp_lg_u32 s18, 0
	s_addc_u32 s13, s13, s19
	v_readfirstlane_b32 s18, v1
	s_mul_i32 s19, s15, s13
	s_mul_hi_u32 s13, s15, s13
	s_delay_alu instid0(VALU_DEP_1) | instskip(NEXT) | instid1(SALU_CYCLE_1)
	s_mul_hi_u32 s18, s15, s18
	s_add_u32 s18, s18, s19
	s_addc_u32 s13, 0, s13
	s_add_u32 s18, s18, 0
	s_addc_u32 s13, s13, 0
	s_addc_u32 s18, 0, 0
	s_add_u32 s13, s13, 0
	s_addc_u32 s18, 0, s18
	s_mul_hi_u32 s19, s2, s13
	s_mul_i32 s21, s2, s18
	s_mul_i32 s22, s2, s13
	s_add_i32 s19, s19, s21
	v_sub_co_u32 v1, s21, s15, s22
	s_mul_i32 s20, s3, s13
	s_delay_alu instid0(SALU_CYCLE_1) | instskip(NEXT) | instid1(VALU_DEP_1)
	s_add_i32 s19, s19, s20
	v_sub_co_u32 v2, s22, v1, s2
	s_sub_i32 s20, 0, s19
	s_cmp_lg_u32 s21, 0
	s_subb_u32 s20, s20, s3
	s_cmp_lg_u32 s22, 0
	v_readfirstlane_b32 s22, v2
	s_subb_u32 s20, s20, 0
	s_delay_alu instid0(SALU_CYCLE_1) | instskip(SKIP_1) | instid1(VALU_DEP_1)
	s_cmp_ge_u32 s20, s3
	s_cselect_b32 s23, -1, 0
	s_cmp_ge_u32 s22, s2
	s_cselect_b32 s22, -1, 0
	s_cmp_eq_u32 s20, s3
	s_cselect_b32 s20, s22, s23
	s_add_u32 s22, s13, 1
	s_addc_u32 s23, s18, 0
	s_add_u32 s24, s13, 2
	s_addc_u32 s25, s18, 0
	s_cmp_lg_u32 s20, 0
	s_cselect_b32 s20, s24, s22
	s_cselect_b32 s22, s25, s23
	s_cmp_lg_u32 s21, 0
	v_readfirstlane_b32 s21, v1
	s_subb_u32 s19, 0, s19
	s_delay_alu instid0(SALU_CYCLE_1) | instskip(SKIP_1) | instid1(VALU_DEP_1)
	s_cmp_ge_u32 s19, s3
	s_cselect_b32 s23, -1, 0
	s_cmp_ge_u32 s21, s2
	s_cselect_b32 s2, -1, 0
	s_cmp_eq_u32 s19, s3
	s_cselect_b32 s2, s2, s23
	s_delay_alu instid0(SALU_CYCLE_1) | instskip(SKIP_2) | instid1(SALU_CYCLE_1)
	s_cmp_lg_u32 s2, 0
	s_cselect_b32 s3, s22, s18
	s_cselect_b32 s2, s20, s13
	s_xor_b64 s[2:3], s[2:3], s[16:17]
	s_delay_alu instid0(SALU_CYCLE_1)
	s_sub_u32 s2, s2, s16
	s_subb_u32 s3, s3, s16
	s_and_not1_b32 vcc_lo, exec_lo, s12
	s_cbranch_vccnz .LBB38_3
.LBB38_2:
	v_cvt_f32_u32_e32 v1, s14
	s_sub_i32 s3, 0, s14
	s_delay_alu instid0(VALU_DEP_1) | instskip(SKIP_2) | instid1(VALU_DEP_1)
	v_rcp_iflag_f32_e32 v1, v1
	s_waitcnt_depctr 0xfff
	v_mul_f32_e32 v1, 0x4f7ffffe, v1
	v_cvt_u32_f32_e32 v1, v1
	s_delay_alu instid0(VALU_DEP_1) | instskip(NEXT) | instid1(VALU_DEP_1)
	v_readfirstlane_b32 s2, v1
	s_mul_i32 s3, s3, s2
	s_delay_alu instid0(SALU_CYCLE_1) | instskip(NEXT) | instid1(SALU_CYCLE_1)
	s_mul_hi_u32 s3, s2, s3
	s_add_i32 s2, s2, s3
	s_delay_alu instid0(SALU_CYCLE_1) | instskip(NEXT) | instid1(SALU_CYCLE_1)
	s_mul_hi_u32 s2, s15, s2
	s_mul_i32 s3, s2, s14
	s_add_i32 s12, s2, 1
	s_sub_i32 s3, s15, s3
	s_delay_alu instid0(SALU_CYCLE_1)
	s_sub_i32 s13, s3, s14
	s_cmp_ge_u32 s3, s14
	s_cselect_b32 s2, s12, s2
	s_cselect_b32 s3, s13, s3
	s_add_i32 s12, s2, 1
	s_cmp_ge_u32 s3, s14
	s_mov_b32 s3, 0
	s_cselect_b32 s2, s12, s2
.LBB38_3:
	s_load_b64 s[12:13], s[0:1], 0x8
	s_mul_i32 s14, s2, s14
	s_delay_alu instid0(SALU_CYCLE_1) | instskip(NEXT) | instid1(SALU_CYCLE_1)
	s_sub_i32 s16, s15, s14
	s_ashr_i32 s17, s16, 31
	s_delay_alu instid0(SALU_CYCLE_1) | instskip(SKIP_1) | instid1(SALU_CYCLE_1)
	s_or_b64 s[18:19], s[16:17], s[10:11]
	s_mov_b32 s18, 0
	s_cmp_lg_u64 s[18:19], 0
	s_cbranch_scc0 .LBB38_36
; %bb.4:
	s_ashr_i32 s20, s11, 31
	s_delay_alu instid0(SALU_CYCLE_1) | instskip(SKIP_2) | instid1(SALU_CYCLE_1)
	s_add_u32 s22, s10, s20
	s_mov_b32 s21, s20
	s_addc_u32 s23, s11, s20
	s_xor_b64 s[22:23], s[22:23], s[20:21]
	s_delay_alu instid0(SALU_CYCLE_1) | instskip(SKIP_3) | instid1(VALU_DEP_1)
	v_cvt_f32_u32_e32 v1, s22
	v_cvt_f32_u32_e32 v2, s23
	s_sub_u32 s25, 0, s22
	s_subb_u32 s26, 0, s23
	v_fmamk_f32 v1, v2, 0x4f800000, v1
	s_delay_alu instid0(VALU_DEP_1) | instskip(SKIP_2) | instid1(VALU_DEP_1)
	v_rcp_f32_e32 v1, v1
	s_waitcnt_depctr 0xfff
	v_mul_f32_e32 v1, 0x5f7ffffc, v1
	v_mul_f32_e32 v2, 0x2f800000, v1
	s_delay_alu instid0(VALU_DEP_1) | instskip(NEXT) | instid1(VALU_DEP_1)
	v_trunc_f32_e32 v2, v2
	v_fmamk_f32 v1, v2, 0xcf800000, v1
	v_cvt_u32_f32_e32 v2, v2
	s_delay_alu instid0(VALU_DEP_2) | instskip(NEXT) | instid1(VALU_DEP_2)
	v_cvt_u32_f32_e32 v1, v1
	v_readfirstlane_b32 s14, v2
	s_delay_alu instid0(VALU_DEP_2) | instskip(NEXT) | instid1(VALU_DEP_2)
	v_readfirstlane_b32 s19, v1
	s_mul_i32 s24, s25, s14
	s_delay_alu instid0(VALU_DEP_1)
	s_mul_hi_u32 s28, s25, s19
	s_mul_i32 s27, s26, s19
	s_add_i32 s24, s28, s24
	s_mul_i32 s29, s25, s19
	s_add_i32 s24, s24, s27
	s_mul_hi_u32 s28, s19, s29
	s_mul_hi_u32 s30, s14, s29
	s_mul_i32 s27, s14, s29
	s_mul_hi_u32 s29, s19, s24
	s_mul_i32 s19, s19, s24
	s_mul_hi_u32 s31, s14, s24
	s_add_u32 s19, s28, s19
	s_addc_u32 s28, 0, s29
	s_add_u32 s19, s19, s27
	s_mul_i32 s24, s14, s24
	s_addc_u32 s19, s28, s30
	s_addc_u32 s27, s31, 0
	s_add_u32 s19, s19, s24
	s_addc_u32 s24, 0, s27
	v_add_co_u32 v1, s19, v1, s19
	s_delay_alu instid0(VALU_DEP_1) | instskip(SKIP_1) | instid1(VALU_DEP_1)
	s_cmp_lg_u32 s19, 0
	s_addc_u32 s14, s14, s24
	v_readfirstlane_b32 s19, v1
	s_mul_i32 s27, s25, s14
	s_mov_b32 s24, s17
	s_delay_alu instid0(VALU_DEP_1)
	s_mul_hi_u32 s28, s25, s19
	s_mul_i32 s26, s26, s19
	s_add_i32 s27, s28, s27
	s_mul_i32 s25, s25, s19
	s_add_i32 s27, s27, s26
	s_mul_hi_u32 s28, s14, s25
	s_mul_i32 s29, s14, s25
	s_mul_hi_u32 s25, s19, s25
	s_mul_hi_u32 s30, s19, s27
	s_mul_i32 s19, s19, s27
	s_mul_hi_u32 s26, s14, s27
	s_add_u32 s19, s25, s19
	s_addc_u32 s25, 0, s30
	s_add_u32 s19, s19, s29
	s_mul_i32 s27, s14, s27
	s_addc_u32 s19, s25, s28
	s_addc_u32 s25, s26, 0
	s_add_u32 s19, s19, s27
	s_addc_u32 s26, 0, s25
	v_add_co_u32 v1, s19, v1, s19
	s_delay_alu instid0(VALU_DEP_1)
	s_cmp_lg_u32 s19, 0
	s_mov_b32 s25, s17
	s_addc_u32 s14, s14, s26
	s_add_u32 s26, s16, s17
	v_readfirstlane_b32 s19, v1
	s_addc_u32 s27, s17, s17
	s_delay_alu instid0(SALU_CYCLE_1) | instskip(NEXT) | instid1(SALU_CYCLE_1)
	s_xor_b64 s[26:27], s[26:27], s[24:25]
	s_mul_i32 s29, s26, s14
	s_delay_alu instid0(VALU_DEP_1)
	s_mul_hi_u32 s30, s26, s19
	s_mul_hi_u32 s28, s26, s14
	;; [unrolled: 1-line block ×3, first 2 shown]
	s_mul_i32 s19, s27, s19
	s_add_u32 s29, s30, s29
	s_addc_u32 s28, 0, s28
	s_mul_hi_u32 s31, s27, s14
	s_add_u32 s19, s29, s19
	s_mul_i32 s14, s27, s14
	s_addc_u32 s19, s28, s33
	s_addc_u32 s28, s31, 0
	s_add_u32 s14, s19, s14
	s_addc_u32 s19, 0, s28
	s_mul_i32 s31, s22, s14
	s_mul_hi_u32 s28, s22, s14
	s_mul_i32 s30, s22, s19
	v_sub_co_u32 v1, s26, s26, s31
	s_mul_i32 s29, s23, s14
	s_add_i32 s28, s28, s30
	s_delay_alu instid0(SALU_CYCLE_1) | instskip(NEXT) | instid1(VALU_DEP_1)
	s_add_i32 s28, s28, s29
	v_sub_co_u32 v2, s30, v1, s22
	s_sub_i32 s29, s27, s28
	s_cmp_lg_u32 s26, 0
	s_subb_u32 s29, s29, s23
	s_cmp_lg_u32 s30, 0
	v_readfirstlane_b32 s30, v2
	s_subb_u32 s29, s29, 0
	s_delay_alu instid0(SALU_CYCLE_1) | instskip(SKIP_1) | instid1(VALU_DEP_1)
	s_cmp_ge_u32 s29, s23
	s_cselect_b32 s31, -1, 0
	s_cmp_ge_u32 s30, s22
	s_cselect_b32 s30, -1, 0
	s_cmp_eq_u32 s29, s23
	s_cselect_b32 s29, s30, s31
	s_add_u32 s30, s14, 1
	s_addc_u32 s31, s19, 0
	s_add_u32 s33, s14, 2
	s_addc_u32 s34, s19, 0
	s_cmp_lg_u32 s29, 0
	s_cselect_b32 s29, s33, s30
	s_cselect_b32 s30, s34, s31
	s_cmp_lg_u32 s26, 0
	v_readfirstlane_b32 s26, v1
	s_subb_u32 s27, s27, s28
	s_delay_alu instid0(SALU_CYCLE_1) | instskip(SKIP_1) | instid1(VALU_DEP_1)
	s_cmp_ge_u32 s27, s23
	s_cselect_b32 s28, -1, 0
	s_cmp_ge_u32 s26, s22
	s_cselect_b32 s22, -1, 0
	s_cmp_eq_u32 s27, s23
	s_cselect_b32 s22, s22, s28
	s_delay_alu instid0(SALU_CYCLE_1) | instskip(SKIP_3) | instid1(SALU_CYCLE_1)
	s_cmp_lg_u32 s22, 0
	s_cselect_b32 s23, s30, s19
	s_cselect_b32 s22, s29, s14
	s_xor_b64 s[20:21], s[24:25], s[20:21]
	s_xor_b64 s[22:23], s[22:23], s[20:21]
	s_delay_alu instid0(SALU_CYCLE_1)
	s_sub_u32 s20, s22, s20
	s_subb_u32 s21, s23, s21
	s_and_not1_b32 vcc_lo, exec_lo, s18
	s_cbranch_vccnz .LBB38_6
.LBB38_5:
	v_cvt_f32_u32_e32 v1, s10
	s_sub_i32 s18, 0, s10
	s_mov_b32 s21, 0
	s_delay_alu instid0(VALU_DEP_1) | instskip(SKIP_2) | instid1(VALU_DEP_1)
	v_rcp_iflag_f32_e32 v1, v1
	s_waitcnt_depctr 0xfff
	v_mul_f32_e32 v1, 0x4f7ffffe, v1
	v_cvt_u32_f32_e32 v1, v1
	s_delay_alu instid0(VALU_DEP_1) | instskip(NEXT) | instid1(VALU_DEP_1)
	v_readfirstlane_b32 s14, v1
	s_mul_i32 s18, s18, s14
	s_delay_alu instid0(SALU_CYCLE_1) | instskip(NEXT) | instid1(SALU_CYCLE_1)
	s_mul_hi_u32 s18, s14, s18
	s_add_i32 s14, s14, s18
	s_delay_alu instid0(SALU_CYCLE_1) | instskip(NEXT) | instid1(SALU_CYCLE_1)
	s_mul_hi_u32 s14, s16, s14
	s_mul_i32 s18, s14, s10
	s_add_i32 s19, s14, 1
	s_sub_i32 s18, s16, s18
	s_delay_alu instid0(SALU_CYCLE_1)
	s_sub_i32 s20, s18, s10
	s_cmp_ge_u32 s18, s10
	s_cselect_b32 s14, s19, s14
	s_cselect_b32 s18, s20, s18
	s_add_i32 s19, s14, 1
	s_cmp_ge_u32 s18, s10
	s_cselect_b32 s20, s19, s14
.LBB38_6:
	s_delay_alu instid0(SALU_CYCLE_1)
	s_mul_i32 s11, s20, s11
	s_mul_hi_u32 s14, s20, s10
	s_mul_i32 s9, s2, s9
	s_add_i32 s11, s14, s11
	s_mul_i32 s14, s21, s10
	s_mul_i32 s10, s20, s10
	s_add_i32 s11, s11, s14
	s_sub_u32 s16, s16, s10
	s_subb_u32 s17, s17, s11
	s_mul_hi_u32 s14, s2, s8
	s_bfe_i64 s[10:11], s[2:3], 0x200000
	s_add_i32 s3, s14, s9
	s_mul_i32 s9, s11, s8
	s_mul_i32 s2, s2, s8
	s_add_i32 s3, s3, s9
	s_load_b32 s18, s[0:1], 0x5c
	s_lshl_b64 s[8:9], s[2:3], 1
	s_mul_i32 s7, s20, s7
	s_waitcnt lgkmcnt(0)
	s_add_u32 s10, s12, s8
	s_mul_hi_u32 s14, s20, s6
	s_addc_u32 s11, s13, s9
	s_bfe_i64 s[2:3], s[20:21], 0x200000
	s_add_i32 s2, s14, s7
	s_load_b32 s14, s[0:1], 0x48
	s_mul_i32 s3, s3, s6
	s_mul_i32 s17, s17, s4
	s_add_i32 s3, s2, s3
	s_mul_i32 s2, s20, s6
	s_delay_alu instid0(SALU_CYCLE_1)
	s_lshl_b64 s[6:7], s[2:3], 1
	s_mul_i32 s2, s16, s5
	s_mul_hi_u32 s3, s16, s4
	s_add_u32 s10, s10, s6
	s_addc_u32 s11, s11, s7
	s_add_i32 s2, s3, s2
	s_delay_alu instid0(SALU_CYCLE_1) | instskip(SKIP_1) | instid1(SALU_CYCLE_1)
	s_add_i32 s3, s2, s17
	s_mul_i32 s2, s16, s4
	s_lshl_b64 s[4:5], s[2:3], 1
	s_mov_b32 s3, 0
	s_add_u32 s10, s10, s4
	s_addc_u32 s11, s11, s5
	s_and_b32 s2, s10, 3
	s_and_b32 s18, s18, 0xffff
	s_cmp_lg_u64 s[2:3], 0
	s_cselect_b32 s2, -1, 0
	s_waitcnt lgkmcnt(0)
	s_bitcmp1_b32 s14, 0
	s_cselect_b32 s3, -1, 0
	s_delay_alu instid0(SALU_CYCLE_1) | instskip(NEXT) | instid1(SALU_CYCLE_1)
	s_or_b32 s2, s3, s2
	s_and_b32 vcc_lo, exec_lo, s2
	s_cbranch_vccz .LBB38_19
; %bb.7:
	s_sub_i32 s2, 0, s10
	v_mov_b32_e32 v4, 0
	s_bfe_u32 s2, s2, 0x10001
	s_mov_b32 s17, exec_lo
	s_min_i32 s16, s2, s14
	s_delay_alu instid0(SALU_CYCLE_1)
	v_cmpx_gt_i32_e64 s16, v0
	s_cbranch_execz .LBB38_10
; %bb.8:
	v_dual_mov_b32 v1, 0 :: v_dual_mov_b32 v4, 0
	s_lshl_b32 s19, s18, 1
	s_mov_b32 s20, 0
	s_mov_b64 s[2:3], s[10:11]
.LBB38_9:                               ; =>This Inner Loop Header: Depth=1
	global_load_u16 v2, v1, s[2:3]
	s_add_i32 s20, s20, s18
	s_add_u32 s2, s2, s19
	s_addc_u32 s3, s3, 0
	s_cmp_ge_i32 s20, s16
	s_waitcnt vmcnt(0)
	v_fma_mix_f32 v4, v2, v2, v4 op_sel_hi:[1,1,0]
	s_cbranch_scc0 .LBB38_9
.LBB38_10:
	s_or_b32 exec_lo, exec_lo, s17
	s_sub_i32 s3, s14, s16
	s_ashr_i32 s17, s16, 31
	s_lshr_b32 s2, s3, 31
	s_mov_b32 s20, exec_lo
	s_add_i32 s2, s3, s2
	s_delay_alu instid0(SALU_CYCLE_1) | instskip(NEXT) | instid1(SALU_CYCLE_1)
	s_ashr_i32 s19, s2, 1
	v_cmpx_gt_i32_e64 s19, v0
	s_cbranch_execz .LBB38_14
; %bb.11:
	s_add_u32 s2, s4, s8
	s_addc_u32 s21, s5, s9
	s_add_u32 s2, s2, s6
	s_addc_u32 s21, s21, s7
	s_lshl_b64 s[22:23], s[16:17], 1
	v_lshlrev_b32_e32 v1, 2, v0
	s_add_u32 s22, s12, s22
	s_addc_u32 s23, s13, s23
	s_add_u32 s2, s22, s2
	s_addc_u32 s21, s23, s21
	v_add_co_u32 v1, s2, s2, v1
	s_delay_alu instid0(VALU_DEP_1) | instskip(SKIP_1) | instid1(VALU_DEP_3)
	v_add_co_ci_u32_e64 v2, null, s21, 0, s2
	v_mov_b32_e32 v3, v0
	v_add_co_u32 v1, vcc_lo, v1, 2
	s_delay_alu instid0(VALU_DEP_3)
	v_add_co_ci_u32_e32 v2, vcc_lo, 0, v2, vcc_lo
	s_mov_b32 s21, 0
	s_lshl_b32 s22, s18, 2
.LBB38_12:                              ; =>This Inner Loop Header: Depth=1
	global_load_b32 v5, v[1:2], off offset:-2
	v_add_nc_u32_e32 v3, s18, v3
	v_add_co_u32 v1, vcc_lo, v1, s22
	v_add_co_ci_u32_e32 v2, vcc_lo, 0, v2, vcc_lo
	s_delay_alu instid0(VALU_DEP_3) | instskip(NEXT) | instid1(VALU_DEP_1)
	v_cmp_le_i32_e64 s2, s19, v3
	s_or_b32 s21, s2, s21
	s_waitcnt vmcnt(0)
	v_fma_mix_f32 v4, v5, v5, v4 op_sel_hi:[1,1,0]
	s_delay_alu instid0(VALU_DEP_1)
	v_fma_mix_f32 v4, v5, v5, v4 op_sel:[1,1,0] op_sel_hi:[1,1,0]
	s_and_not1_b32 exec_lo, exec_lo, s21
	s_cbranch_execnz .LBB38_12
; %bb.13:
	s_or_b32 exec_lo, exec_lo, s21
.LBB38_14:
	s_delay_alu instid0(SALU_CYCLE_1) | instskip(SKIP_2) | instid1(VALU_DEP_1)
	s_or_b32 exec_lo, exec_lo, s20
	v_lshl_add_u32 v1, s19, 1, v0
	s_mov_b32 s19, exec_lo
	v_cmpx_gt_i32_e64 s3, v1
	s_cbranch_execz .LBB38_18
; %bb.15:
	v_ashrrev_i32_e32 v2, 31, v1
	s_add_u32 s2, s4, s8
	s_addc_u32 s20, s5, s9
	s_add_u32 s2, s2, s6
	s_addc_u32 s20, s20, s7
	s_lshl_b64 s[16:17], s[16:17], 1
	v_lshlrev_b64 v[2:3], 1, v[1:2]
	s_add_u32 s2, s2, s16
	s_addc_u32 s16, s20, s17
	s_add_u32 s2, s12, s2
	s_addc_u32 s16, s13, s16
	s_lshl_b32 s17, s18, 1
	v_add_co_u32 v2, vcc_lo, s2, v2
	v_add_co_ci_u32_e32 v3, vcc_lo, s16, v3, vcc_lo
	s_mov_b32 s16, 0
.LBB38_16:                              ; =>This Inner Loop Header: Depth=1
	global_load_u16 v5, v[2:3], off
	v_add_nc_u32_e32 v1, s18, v1
	v_add_co_u32 v2, vcc_lo, v2, s17
	v_add_co_ci_u32_e32 v3, vcc_lo, 0, v3, vcc_lo
	s_delay_alu instid0(VALU_DEP_3) | instskip(NEXT) | instid1(VALU_DEP_1)
	v_cmp_le_i32_e64 s2, s3, v1
	s_or_b32 s16, s2, s16
	s_waitcnt vmcnt(0)
	v_fma_mix_f32 v4, v5, v5, v4 op_sel_hi:[1,1,0]
	s_and_not1_b32 exec_lo, exec_lo, s16
	s_cbranch_execnz .LBB38_16
; %bb.17:
	s_or_b32 exec_lo, exec_lo, s16
.LBB38_18:
	s_delay_alu instid0(SALU_CYCLE_1)
	s_or_b32 exec_lo, exec_lo, s19
	s_branch .LBB38_25
.LBB38_19:
                                        ; implicit-def: $vgpr4
	s_cbranch_execz .LBB38_25
; %bb.20:
	v_mov_b32_e32 v4, 0
	s_ashr_i32 s16, s14, 1
	s_mov_b32 s3, exec_lo
	v_cmpx_gt_i32_e64 s16, v0
	s_cbranch_execz .LBB38_24
; %bb.21:
	s_add_u32 s2, s4, s8
	s_addc_u32 s17, s5, s9
	v_dual_mov_b32 v4, 0 :: v_dual_lshlrev_b32 v1, 2, v0
	s_add_u32 s2, s2, s6
	s_addc_u32 s17, s17, s7
	s_add_u32 s2, s12, s2
	s_addc_u32 s17, s13, s17
	v_add_co_u32 v1, s2, s2, v1
	s_delay_alu instid0(VALU_DEP_1) | instskip(SKIP_1) | instid1(VALU_DEP_3)
	v_add_co_ci_u32_e64 v2, null, s17, 0, s2
	v_mov_b32_e32 v3, v0
	v_add_co_u32 v1, vcc_lo, v1, 2
	s_delay_alu instid0(VALU_DEP_3)
	v_add_co_ci_u32_e32 v2, vcc_lo, 0, v2, vcc_lo
	s_mov_b32 s17, 0
	s_lshl_b32 s19, s18, 2
.LBB38_22:                              ; =>This Inner Loop Header: Depth=1
	global_load_b32 v5, v[1:2], off offset:-2
	v_add_nc_u32_e32 v3, s18, v3
	v_add_co_u32 v1, vcc_lo, v1, s19
	v_add_co_ci_u32_e32 v2, vcc_lo, 0, v2, vcc_lo
	s_delay_alu instid0(VALU_DEP_3) | instskip(NEXT) | instid1(VALU_DEP_1)
	v_cmp_le_i32_e64 s2, s16, v3
	s_or_b32 s17, s2, s17
	s_waitcnt vmcnt(0)
	v_fma_mix_f32 v4, v5, v5, v4 op_sel_hi:[1,1,0]
	s_delay_alu instid0(VALU_DEP_1)
	v_fma_mix_f32 v4, v5, v5, v4 op_sel:[1,1,0] op_sel_hi:[1,1,0]
	s_and_not1_b32 exec_lo, exec_lo, s17
	s_cbranch_execnz .LBB38_22
; %bb.23:
	s_or_b32 exec_lo, exec_lo, s17
.LBB38_24:
	s_delay_alu instid0(SALU_CYCLE_1)
	s_or_b32 exec_lo, exec_lo, s3
.LBB38_25:
	v_mbcnt_lo_u32_b32 v1, -1, 0
	v_and_b32_e32 v3, 0x3e0, v0
	s_mov_b32 s2, exec_lo
	s_delay_alu instid0(VALU_DEP_2) | instskip(NEXT) | instid1(VALU_DEP_2)
	v_cmp_ne_u32_e32 vcc_lo, 31, v1
	v_sub_nc_u32_e64 v12, s18, v3 clamp
	v_add_nc_u32_e32 v3, 1, v1
	v_add_co_ci_u32_e32 v2, vcc_lo, 0, v1, vcc_lo
	v_cmp_gt_u32_e32 vcc_lo, 30, v1
	s_delay_alu instid0(VALU_DEP_2)
	v_lshlrev_b32_e32 v2, 2, v2
	v_cndmask_b32_e64 v6, 0, 1, vcc_lo
	v_cmp_lt_u32_e32 vcc_lo, v3, v12
	ds_bpermute_b32 v5, v2, v4
	s_waitcnt lgkmcnt(0)
	v_dual_add_f32 v7, v4, v5 :: v_dual_lshlrev_b32 v6, 1, v6
	s_delay_alu instid0(VALU_DEP_1) | instskip(NEXT) | instid1(VALU_DEP_2)
	v_cndmask_b32_e32 v7, v4, v7, vcc_lo
	v_add_lshl_u32 v5, v6, v1, 2
	v_cmp_gt_u32_e32 vcc_lo, 28, v1
	ds_bpermute_b32 v6, v5, v7
	v_cndmask_b32_e64 v4, 0, 1, vcc_lo
	s_delay_alu instid0(VALU_DEP_1) | instskip(SKIP_1) | instid1(VALU_DEP_1)
	v_lshlrev_b32_e32 v8, 2, v4
	v_add_nc_u32_e32 v4, 2, v1
	v_cmp_lt_u32_e32 vcc_lo, v4, v12
	s_waitcnt lgkmcnt(0)
	v_add_f32_e32 v9, v7, v6
	v_add_lshl_u32 v6, v8, v1, 2
	s_delay_alu instid0(VALU_DEP_2) | instskip(SKIP_2) | instid1(VALU_DEP_1)
	v_cndmask_b32_e32 v9, v7, v9, vcc_lo
	v_cmp_gt_u32_e32 vcc_lo, 24, v1
	v_cndmask_b32_e64 v7, 0, 1, vcc_lo
	v_lshlrev_b32_e32 v10, 3, v7
	ds_bpermute_b32 v8, v6, v9
	v_add_nc_u32_e32 v7, 4, v1
	s_delay_alu instid0(VALU_DEP_1) | instskip(SKIP_3) | instid1(VALU_DEP_2)
	v_cmp_lt_u32_e32 vcc_lo, v7, v12
	s_waitcnt lgkmcnt(0)
	v_add_f32_e32 v11, v9, v8
	v_add_lshl_u32 v8, v10, v1, 2
	v_cndmask_b32_e32 v11, v9, v11, vcc_lo
	v_cmp_gt_u32_e32 vcc_lo, 16, v1
	ds_bpermute_b32 v10, v8, v11
	v_cndmask_b32_e64 v9, 0, 1, vcc_lo
	s_delay_alu instid0(VALU_DEP_1) | instskip(SKIP_1) | instid1(VALU_DEP_1)
	v_lshlrev_b32_e32 v13, 4, v9
	v_add_nc_u32_e32 v9, 8, v1
	v_cmp_lt_u32_e32 vcc_lo, v9, v12
	s_waitcnt lgkmcnt(0)
	v_add_f32_e32 v14, v11, v10
	v_add_lshl_u32 v10, v13, v1, 2
	s_delay_alu instid0(VALU_DEP_2)
	v_cndmask_b32_e32 v13, v11, v14, vcc_lo
	v_add_nc_u32_e32 v11, 16, v1
	ds_bpermute_b32 v14, v10, v13
	v_cmp_lt_u32_e32 vcc_lo, v11, v12
	s_waitcnt lgkmcnt(0)
	v_add_f32_e32 v14, v13, v14
	s_delay_alu instid0(VALU_DEP_1)
	v_cndmask_b32_e32 v12, v13, v14, vcc_lo
	v_cmpx_eq_u32_e32 0, v1
	s_cbranch_execz .LBB38_27
; %bb.26:
	v_lshrrev_b32_e32 v13, 3, v0
	s_delay_alu instid0(VALU_DEP_1)
	v_and_b32_e32 v13, 0x7c, v13
	ds_store_b32 v13, v12
.LBB38_27:
	s_or_b32 exec_lo, exec_lo, s2
	s_delay_alu instid0(SALU_CYCLE_1)
	s_mov_b32 s2, exec_lo
	s_waitcnt lgkmcnt(0)
	s_barrier
	buffer_gl0_inv
	v_cmpx_gt_u32_e32 32, v0
	s_cbranch_execz .LBB38_29
; %bb.28:
	v_lshlrev_b32_e32 v1, 2, v1
	s_add_i32 s3, s18, 31
	s_delay_alu instid0(SALU_CYCLE_1) | instskip(NEXT) | instid1(SALU_CYCLE_1)
	s_lshr_b32 s3, s3, 5
	v_cmp_gt_u32_e32 vcc_lo, s3, v3
	ds_load_b32 v1, v1
	s_waitcnt lgkmcnt(0)
	ds_bpermute_b32 v2, v2, v1
	s_waitcnt lgkmcnt(0)
	v_add_f32_e32 v2, v1, v2
	s_delay_alu instid0(VALU_DEP_1) | instskip(SKIP_4) | instid1(VALU_DEP_1)
	v_cndmask_b32_e32 v1, v1, v2, vcc_lo
	v_cmp_gt_u32_e32 vcc_lo, s3, v4
	ds_bpermute_b32 v2, v5, v1
	s_waitcnt lgkmcnt(0)
	v_add_f32_e32 v2, v1, v2
	v_cndmask_b32_e32 v1, v1, v2, vcc_lo
	v_cmp_gt_u32_e32 vcc_lo, s3, v7
	ds_bpermute_b32 v2, v6, v1
	s_waitcnt lgkmcnt(0)
	v_add_f32_e32 v2, v1, v2
	s_delay_alu instid0(VALU_DEP_1) | instskip(SKIP_4) | instid1(VALU_DEP_1)
	v_cndmask_b32_e32 v1, v1, v2, vcc_lo
	v_cmp_gt_u32_e32 vcc_lo, s3, v9
	ds_bpermute_b32 v2, v8, v1
	s_waitcnt lgkmcnt(0)
	v_add_f32_e32 v2, v1, v2
	v_cndmask_b32_e32 v1, v1, v2, vcc_lo
	v_cmp_gt_u32_e32 vcc_lo, s3, v11
	ds_bpermute_b32 v2, v10, v1
	s_waitcnt lgkmcnt(0)
	v_add_f32_e32 v2, v1, v2
	s_delay_alu instid0(VALU_DEP_1)
	v_cndmask_b32_e32 v12, v1, v2, vcc_lo
.LBB38_29:
	s_or_b32 exec_lo, exec_lo, s2
	s_delay_alu instid0(SALU_CYCLE_1)
	s_mov_b32 s2, exec_lo
	v_cmpx_eq_u32_e32 0, v0
	s_cbranch_execz .LBB38_31
; %bb.30:
	v_cvt_f32_i32_e32 v1, s14
	s_load_b32 s3, s[0:1], 0x40
	s_delay_alu instid0(VALU_DEP_1) | instskip(SKIP_1) | instid1(VALU_DEP_2)
	v_div_scale_f32 v2, null, v1, v1, v12
	v_div_scale_f32 v5, vcc_lo, v12, v1, v12
	v_rcp_f32_e32 v3, v2
	s_waitcnt_depctr 0xfff
	v_fma_f32 v4, -v2, v3, 1.0
	s_delay_alu instid0(VALU_DEP_1) | instskip(NEXT) | instid1(VALU_DEP_1)
	v_fmac_f32_e32 v3, v4, v3
	v_mul_f32_e32 v4, v5, v3
	s_delay_alu instid0(VALU_DEP_1) | instskip(NEXT) | instid1(VALU_DEP_1)
	v_fma_f32 v6, -v2, v4, v5
	v_fmac_f32_e32 v4, v6, v3
	s_delay_alu instid0(VALU_DEP_1) | instskip(NEXT) | instid1(VALU_DEP_1)
	v_fma_f32 v2, -v2, v4, v5
	v_div_fmas_f32 v2, v2, v3, v4
	s_delay_alu instid0(VALU_DEP_1) | instskip(SKIP_1) | instid1(VALU_DEP_1)
	v_div_fixup_f32 v1, v2, v1, v12
	s_waitcnt lgkmcnt(0)
	v_add_f32_e32 v1, s3, v1
	s_delay_alu instid0(VALU_DEP_1) | instskip(SKIP_1) | instid1(VALU_DEP_2)
	v_mul_f32_e32 v2, 0x4b800000, v1
	v_cmp_gt_f32_e32 vcc_lo, 0x800000, v1
	v_cndmask_b32_e32 v1, v1, v2, vcc_lo
	s_delay_alu instid0(VALU_DEP_1) | instskip(SKIP_2) | instid1(VALU_DEP_1)
	v_rsq_f32_e32 v1, v1
	s_waitcnt_depctr 0xfff
	v_mul_f32_e32 v2, 0x45800000, v1
	v_dual_cndmask_b32 v1, v1, v2 :: v_dual_mov_b32 v2, 0
	ds_store_b32 v2, v1 offset:128
.LBB38_31:
	s_or_b32 exec_lo, exec_lo, s2
	s_lshr_b32 s2, s14, 31
	s_waitcnt lgkmcnt(0)
	s_add_i32 s2, s14, s2
	s_barrier
	s_ashr_i32 s19, s2, 1
	buffer_gl0_inv
	s_mov_b32 s2, exec_lo
	v_cmpx_gt_i32_e64 s19, v0
	s_cbranch_execz .LBB38_43
; %bb.32:
	v_cvt_f32_u32_e32 v1, s18
	s_sub_i32 s2, 0, s18
	v_add_nc_u32_e32 v3, s18, v0
	s_cmp_lg_u32 s18, 1
	s_mul_i32 s14, s15, s14
	v_rcp_iflag_f32_e32 v1, v1
	s_mov_b32 s15, 0
	v_cmp_gt_i32_e32 vcc_lo, s19, v3
	v_max_i32_e32 v4, s19, v3
	s_waitcnt_depctr 0xfff
	v_mul_f32_e32 v1, 0x4f7ffffe, v1
	s_delay_alu instid0(VALU_DEP_1) | instskip(NEXT) | instid1(VALU_DEP_1)
	v_cvt_u32_f32_e32 v1, v1
	v_mul_lo_u32 v2, s2, v1
	v_add_co_ci_u32_e64 v3, s2, s18, v0, vcc_lo
	s_delay_alu instid0(VALU_DEP_1) | instskip(NEXT) | instid1(VALU_DEP_3)
	v_sub_nc_u32_e32 v3, v4, v3
	v_mul_hi_u32 v2, v1, v2
	s_delay_alu instid0(VALU_DEP_1) | instskip(NEXT) | instid1(VALU_DEP_1)
	v_add_nc_u32_e32 v1, v1, v2
	v_mul_hi_u32 v1, v3, v1
	s_delay_alu instid0(VALU_DEP_1) | instskip(NEXT) | instid1(VALU_DEP_1)
	v_mul_lo_u32 v2, v1, s18
	v_sub_nc_u32_e32 v2, v3, v2
	v_add_nc_u32_e32 v3, 1, v1
	s_delay_alu instid0(VALU_DEP_2) | instskip(SKIP_1) | instid1(VALU_DEP_1)
	v_subrev_nc_u32_e32 v4, s18, v2
	v_cmp_le_u32_e64 s2, s18, v2
	v_cndmask_b32_e64 v1, v1, v3, s2
	s_delay_alu instid0(VALU_DEP_3)
	v_cndmask_b32_e64 v2, v2, v4, s2
	v_mov_b32_e32 v3, 0
	s_clause 0x1
	s_load_b64 s[2:3], s[0:1], 0x0
	s_load_b64 s[16:17], s[0:1], 0x38
	s_mov_b32 s1, s15
	v_add_nc_u32_e32 v4, 1, v1
	v_cmp_le_u32_e64 s0, s18, v2
	ds_load_b32 v5, v3 offset:128
	v_cndmask_b32_e64 v1, v1, v4, s0
	s_cselect_b32 s0, -1, 0
	s_delay_alu instid0(VALU_DEP_1) | instskip(NEXT) | instid1(VALU_DEP_1)
	v_add_co_ci_u32_e32 v6, vcc_lo, 1, v1, vcc_lo
	v_cmp_gt_u32_e32 vcc_lo, 2, v6
	s_or_b32 s0, vcc_lo, s0
	s_delay_alu instid0(SALU_CYCLE_1) | instskip(NEXT) | instid1(SALU_CYCLE_1)
	s_and_saveexec_b32 s20, s0
	s_xor_b32 s0, exec_lo, s20
	s_cbranch_execnz .LBB38_37
; %bb.33:
	s_and_not1_saveexec_b32 s20, s0
	s_cbranch_execnz .LBB38_38
.LBB38_34:
	s_or_b32 exec_lo, exec_lo, s20
	s_delay_alu instid0(SALU_CYCLE_1)
	s_and_b32 exec_lo, exec_lo, s1
	s_cbranch_execnz .LBB38_41
	s_branch .LBB38_43
.LBB38_35:
                                        ; implicit-def: $sgpr2_sgpr3
	s_branch .LBB38_2
.LBB38_36:
                                        ; implicit-def: $sgpr20_sgpr21
	s_branch .LBB38_5
.LBB38_37:
	s_mov_b32 s1, exec_lo
                                        ; implicit-def: $vgpr6
	s_and_not1_saveexec_b32 s20, s0
	s_cbranch_execz .LBB38_34
.LBB38_38:
	v_dual_mov_b32 v2, 0 :: v_dual_and_b32 v7, -2, v6
	v_add_nc_u32_e32 v1, 1, v0
	s_lshl_b64 s[22:23], s[14:15], 1
	s_delay_alu instid0(VALU_DEP_2)
	v_mov_b32_e32 v8, v7
	s_waitcnt lgkmcnt(0)
	s_add_u32 s21, s2, s22
	v_dual_mov_b32 v4, v1 :: v_dual_mov_b32 v3, v0
	s_addc_u32 s23, s3, s23
	s_mov_b32 s22, 0
.LBB38_39:                              ; =>This Inner Loop Header: Depth=1
	s_delay_alu instid0(VALU_DEP_1) | instskip(SKIP_1) | instid1(VALU_DEP_2)
	v_dual_mov_b32 v1, v3 :: v_dual_add_nc_u32 v8, -2, v8
	v_add_nc_u32_e32 v3, 2, v3
	v_lshlrev_b64 v[9:10], 2, v[1:2]
	v_dual_mov_b32 v1, v4 :: v_dual_add_nc_u32 v4, 2, v4
	s_delay_alu instid0(VALU_DEP_1) | instskip(NEXT) | instid1(VALU_DEP_3)
	v_lshlrev_b64 v[11:12], 2, v[1:2]
	v_add_co_u32 v13, vcc_lo, s10, v9
	s_delay_alu instid0(VALU_DEP_4)
	v_add_co_ci_u32_e32 v14, vcc_lo, s11, v10, vcc_lo
	v_add_co_u32 v15, vcc_lo, s16, v9
	v_add_co_ci_u32_e32 v16, vcc_lo, s17, v10, vcc_lo
	v_add_co_u32 v17, vcc_lo, s16, v11
	;; [unrolled: 2-line block ×3, first 2 shown]
	v_add_co_ci_u32_e32 v20, vcc_lo, s11, v12, vcc_lo
	global_load_b32 v1, v[13:14], off
	s_clause 0x1
	global_load_b32 v13, v[15:16], off
	global_load_b32 v14, v[17:18], off
	;; [unrolled: 1-line block ×3, first 2 shown]
	v_add_co_u32 v9, s0, s21, v9
	v_cmp_eq_u32_e32 vcc_lo, 0, v8
	v_add_co_ci_u32_e64 v10, s0, s23, v10, s0
	v_add_co_u32 v11, s0, s21, v11
	s_delay_alu instid0(VALU_DEP_1)
	v_add_co_ci_u32_e64 v12, s0, s23, v12, s0
	s_or_b32 s22, vcc_lo, s22
	s_waitcnt vmcnt(3)
	v_fma_mixlo_f16 v16, v5, v1, 0 op_sel_hi:[0,1,0]
	v_fma_mixlo_f16 v1, v5, v1, 0 op_sel:[0,1,0] op_sel_hi:[0,1,0]
	s_waitcnt vmcnt(1)
	v_perm_b32 v17, v14, v13, 0x5040100
	v_perm_b32 v13, v14, v13, 0x7060302
	s_waitcnt vmcnt(0)
	v_fma_mixhi_f16 v16, v5, v15, 0 op_sel_hi:[0,1,0]
	v_fma_mixhi_f16 v1, v5, v15, 0 op_sel:[0,1,0] op_sel_hi:[0,1,0]
	s_delay_alu instid0(VALU_DEP_2) | instskip(NEXT) | instid1(VALU_DEP_2)
	v_pk_mul_f16 v14, v17, v16
	v_pk_mul_f16 v1, v13, v1
	s_delay_alu instid0(VALU_DEP_1)
	v_pack_b32_f16 v13, v14, v1
	v_perm_b32 v1, v1, v14, 0x7060302
	s_clause 0x1
	global_store_b32 v[9:10], v13, off
	global_store_b32 v[11:12], v1, off
	s_and_not1_b32 exec_lo, exec_lo, s22
	s_cbranch_execnz .LBB38_39
; %bb.40:
	s_or_b32 exec_lo, exec_lo, s22
	v_cmp_ne_u32_e32 vcc_lo, v6, v7
	v_add_nc_u32_e32 v0, v0, v7
	s_and_not1_b32 s0, s1, exec_lo
	s_and_b32 s1, vcc_lo, exec_lo
	s_delay_alu instid0(SALU_CYCLE_1) | instskip(SKIP_1) | instid1(SALU_CYCLE_1)
	s_or_b32 s1, s0, s1
	s_or_b32 exec_lo, exec_lo, s20
	s_and_b32 exec_lo, exec_lo, s1
	s_cbranch_execz .LBB38_43
.LBB38_41:
	s_waitcnt lgkmcnt(0)
	v_dual_mov_b32 v1, 0 :: v_dual_mov_b32 v2, v5
	s_add_u32 s0, s4, s8
	s_addc_u32 s1, s5, s9
	s_add_u32 s0, s0, s6
	s_delay_alu instid0(VALU_DEP_1) | instskip(SKIP_4) | instid1(VALU_DEP_1)
	v_lshlrev_b64 v[7:8], 2, v[0:1]
	s_addc_u32 s1, s1, s7
	s_add_u32 s0, s12, s0
	s_addc_u32 s1, s13, s1
	s_lshl_b64 s[4:5], s[14:15], 1
	v_add_co_u32 v1, vcc_lo, s0, v7
	v_add_co_ci_u32_e32 v3, vcc_lo, s1, v8, vcc_lo
	s_lshl_b32 s1, s18, 2
	v_add_co_u32 v4, vcc_lo, s16, v7
	s_add_u32 s0, s2, s4
	v_add_co_ci_u32_e32 v6, vcc_lo, s17, v8, vcc_lo
	s_addc_u32 s2, s3, s5
	v_add_co_u32 v7, vcc_lo, s0, v7
	v_add_co_ci_u32_e32 v8, vcc_lo, s2, v8, vcc_lo
	s_mov_b32 s4, 0
	s_mov_b64 s[2:3], 0
	.p2align	6
.LBB38_42:                              ; =>This Inner Loop Header: Depth=1
	s_delay_alu instid0(SALU_CYCLE_1)
	v_add_co_u32 v9, vcc_lo, v1, s2
	v_add_co_ci_u32_e32 v10, vcc_lo, s3, v3, vcc_lo
	v_add_nc_u32_e32 v0, s18, v0
	global_load_b32 v11, v[9:10], off
	v_add_co_u32 v9, vcc_lo, v4, s2
	v_add_co_ci_u32_e32 v10, vcc_lo, s3, v6, vcc_lo
	v_cmp_le_i32_e64 s0, s19, v0
	global_load_b32 v12, v[9:10], off
	v_add_co_u32 v9, vcc_lo, v7, s2
	v_add_co_ci_u32_e32 v10, vcc_lo, s3, v8, vcc_lo
	s_add_u32 s2, s2, s1
	s_addc_u32 s3, s3, 0
	s_or_b32 s4, s0, s4
	s_waitcnt vmcnt(1)
	v_fma_mixlo_f16 v13, v5, v11, 0 op_sel_hi:[0,1,0]
	s_delay_alu instid0(VALU_DEP_1) | instskip(SKIP_1) | instid1(VALU_DEP_1)
	v_fma_mixhi_f16 v13, v2, v11, 0 op_sel:[0,1,0] op_sel_hi:[0,1,0]
	s_waitcnt vmcnt(0)
	v_pk_mul_f16 v11, v12, v13
	global_store_b32 v[9:10], v11, off
	s_and_not1_b32 exec_lo, exec_lo, s4
	s_cbranch_execnz .LBB38_42
.LBB38_43:
	s_nop 0
	s_sendmsg sendmsg(MSG_DEALLOC_VGPRS)
	s_endpgm
	.section	.rodata,"a",@progbits
	.p2align	6, 0x0
	.amdhsa_kernel _ZN4vllm15rms_norm_kernelIN3c104HalfELi2ELi4EEEvPT_PKS3_lllllS6_fii
		.amdhsa_group_segment_fixed_size 132
		.amdhsa_private_segment_fixed_size 0
		.amdhsa_kernarg_size 336
		.amdhsa_user_sgpr_count 15
		.amdhsa_user_sgpr_dispatch_ptr 0
		.amdhsa_user_sgpr_queue_ptr 0
		.amdhsa_user_sgpr_kernarg_segment_ptr 1
		.amdhsa_user_sgpr_dispatch_id 0
		.amdhsa_user_sgpr_private_segment_size 0
		.amdhsa_wavefront_size32 1
		.amdhsa_uses_dynamic_stack 0
		.amdhsa_enable_private_segment 0
		.amdhsa_system_sgpr_workgroup_id_x 1
		.amdhsa_system_sgpr_workgroup_id_y 0
		.amdhsa_system_sgpr_workgroup_id_z 0
		.amdhsa_system_sgpr_workgroup_info 0
		.amdhsa_system_vgpr_workitem_id 0
		.amdhsa_next_free_vgpr 21
		.amdhsa_next_free_sgpr 35
		.amdhsa_reserve_vcc 1
		.amdhsa_float_round_mode_32 0
		.amdhsa_float_round_mode_16_64 0
		.amdhsa_float_denorm_mode_32 3
		.amdhsa_float_denorm_mode_16_64 3
		.amdhsa_dx10_clamp 1
		.amdhsa_ieee_mode 1
		.amdhsa_fp16_overflow 0
		.amdhsa_workgroup_processor_mode 1
		.amdhsa_memory_ordered 1
		.amdhsa_forward_progress 0
		.amdhsa_shared_vgpr_count 0
		.amdhsa_exception_fp_ieee_invalid_op 0
		.amdhsa_exception_fp_denorm_src 0
		.amdhsa_exception_fp_ieee_div_zero 0
		.amdhsa_exception_fp_ieee_overflow 0
		.amdhsa_exception_fp_ieee_underflow 0
		.amdhsa_exception_fp_ieee_inexact 0
		.amdhsa_exception_int_div_zero 0
	.end_amdhsa_kernel
	.section	.text._ZN4vllm15rms_norm_kernelIN3c104HalfELi2ELi4EEEvPT_PKS3_lllllS6_fii,"axG",@progbits,_ZN4vllm15rms_norm_kernelIN3c104HalfELi2ELi4EEEvPT_PKS3_lllllS6_fii,comdat
.Lfunc_end38:
	.size	_ZN4vllm15rms_norm_kernelIN3c104HalfELi2ELi4EEEvPT_PKS3_lllllS6_fii, .Lfunc_end38-_ZN4vllm15rms_norm_kernelIN3c104HalfELi2ELi4EEEvPT_PKS3_lllllS6_fii
                                        ; -- End function
	.section	.AMDGPU.csdata,"",@progbits
; Kernel info:
; codeLenInByte = 4196
; NumSgprs: 37
; NumVgprs: 21
; ScratchSize: 0
; MemoryBound: 0
; FloatMode: 240
; IeeeMode: 1
; LDSByteSize: 132 bytes/workgroup (compile time only)
; SGPRBlocks: 4
; VGPRBlocks: 2
; NumSGPRsForWavesPerEU: 37
; NumVGPRsForWavesPerEU: 21
; Occupancy: 16
; WaveLimiterHint : 0
; COMPUTE_PGM_RSRC2:SCRATCH_EN: 0
; COMPUTE_PGM_RSRC2:USER_SGPR: 15
; COMPUTE_PGM_RSRC2:TRAP_HANDLER: 0
; COMPUTE_PGM_RSRC2:TGID_X_EN: 1
; COMPUTE_PGM_RSRC2:TGID_Y_EN: 0
; COMPUTE_PGM_RSRC2:TGID_Z_EN: 0
; COMPUTE_PGM_RSRC2:TIDIG_COMP_CNT: 0
	.section	.text._ZN4vllm15rms_norm_kernelIN3c104HalfELi1ELi4EEEvPT_PKS3_lllllS6_fii,"axG",@progbits,_ZN4vllm15rms_norm_kernelIN3c104HalfELi1ELi4EEEvPT_PKS3_lllllS6_fii,comdat
	.protected	_ZN4vllm15rms_norm_kernelIN3c104HalfELi1ELi4EEEvPT_PKS3_lllllS6_fii ; -- Begin function _ZN4vllm15rms_norm_kernelIN3c104HalfELi1ELi4EEEvPT_PKS3_lllllS6_fii
	.globl	_ZN4vllm15rms_norm_kernelIN3c104HalfELi1ELi4EEEvPT_PKS3_lllllS6_fii
	.p2align	8
	.type	_ZN4vllm15rms_norm_kernelIN3c104HalfELi1ELi4EEEvPT_PKS3_lllllS6_fii,@function
_ZN4vllm15rms_norm_kernelIN3c104HalfELi1ELi4EEEvPT_PKS3_lllllS6_fii: ; @_ZN4vllm15rms_norm_kernelIN3c104HalfELi1ELi4EEEvPT_PKS3_lllllS6_fii
; %bb.0:
	s_clause 0x1
	s_load_b256 s[4:11], s[0:1], 0x10
	s_load_b64 s[2:3], s[0:1], 0x30
	s_waitcnt lgkmcnt(0)
	s_mul_i32 s12, s2, s11
	s_mul_hi_u32 s13, s2, s10
	s_mul_i32 s3, s3, s10
	s_add_i32 s13, s13, s12
	s_mov_b32 s12, 0
	s_add_i32 s13, s13, s3
	s_mul_i32 s14, s2, s10
	s_cmp_lg_u64 s[12:13], 0
	s_cbranch_scc0 .LBB39_28
; %bb.1:
	s_ashr_i32 s16, s13, 31
	s_delay_alu instid0(SALU_CYCLE_1) | instskip(SKIP_2) | instid1(SALU_CYCLE_1)
	s_add_u32 s2, s14, s16
	s_mov_b32 s17, s16
	s_addc_u32 s3, s13, s16
	s_xor_b64 s[2:3], s[2:3], s[16:17]
	s_delay_alu instid0(SALU_CYCLE_1) | instskip(SKIP_3) | instid1(VALU_DEP_1)
	v_cvt_f32_u32_e32 v1, s2
	v_cvt_f32_u32_e32 v2, s3
	s_sub_u32 s19, 0, s2
	s_subb_u32 s20, 0, s3
	v_fmamk_f32 v1, v2, 0x4f800000, v1
	s_delay_alu instid0(VALU_DEP_1) | instskip(SKIP_2) | instid1(VALU_DEP_1)
	v_rcp_f32_e32 v1, v1
	s_waitcnt_depctr 0xfff
	v_mul_f32_e32 v1, 0x5f7ffffc, v1
	v_mul_f32_e32 v2, 0x2f800000, v1
	s_delay_alu instid0(VALU_DEP_1) | instskip(NEXT) | instid1(VALU_DEP_1)
	v_trunc_f32_e32 v2, v2
	v_fmamk_f32 v1, v2, 0xcf800000, v1
	v_cvt_u32_f32_e32 v2, v2
	s_delay_alu instid0(VALU_DEP_2) | instskip(NEXT) | instid1(VALU_DEP_2)
	v_cvt_u32_f32_e32 v1, v1
	v_readfirstlane_b32 s13, v2
	s_delay_alu instid0(VALU_DEP_2) | instskip(NEXT) | instid1(VALU_DEP_2)
	v_readfirstlane_b32 s18, v1
	s_mul_i32 s21, s19, s13
	s_delay_alu instid0(VALU_DEP_1)
	s_mul_hi_u32 s23, s19, s18
	s_mul_i32 s22, s20, s18
	s_add_i32 s21, s23, s21
	s_mul_i32 s24, s19, s18
	s_add_i32 s21, s21, s22
	s_mul_hi_u32 s23, s18, s24
	s_mul_hi_u32 s25, s13, s24
	s_mul_i32 s22, s13, s24
	s_mul_hi_u32 s24, s18, s21
	s_mul_i32 s18, s18, s21
	s_mul_hi_u32 s26, s13, s21
	s_add_u32 s18, s23, s18
	s_addc_u32 s23, 0, s24
	s_add_u32 s18, s18, s22
	s_mul_i32 s21, s13, s21
	s_addc_u32 s18, s23, s25
	s_addc_u32 s22, s26, 0
	s_add_u32 s18, s18, s21
	s_addc_u32 s21, 0, s22
	v_add_co_u32 v1, s18, v1, s18
	s_delay_alu instid0(VALU_DEP_1) | instskip(SKIP_1) | instid1(VALU_DEP_1)
	s_cmp_lg_u32 s18, 0
	s_addc_u32 s13, s13, s21
	v_readfirstlane_b32 s18, v1
	s_mul_i32 s21, s19, s13
	s_delay_alu instid0(VALU_DEP_1)
	s_mul_hi_u32 s22, s19, s18
	s_mul_i32 s20, s20, s18
	s_add_i32 s21, s22, s21
	s_mul_i32 s19, s19, s18
	s_add_i32 s21, s21, s20
	s_mul_hi_u32 s22, s13, s19
	s_mul_i32 s23, s13, s19
	s_mul_hi_u32 s19, s18, s19
	s_mul_hi_u32 s24, s18, s21
	s_mul_i32 s18, s18, s21
	s_mul_hi_u32 s20, s13, s21
	s_add_u32 s18, s19, s18
	s_addc_u32 s19, 0, s24
	s_add_u32 s18, s18, s23
	s_mul_i32 s21, s13, s21
	s_addc_u32 s18, s19, s22
	s_addc_u32 s19, s20, 0
	s_add_u32 s18, s18, s21
	s_addc_u32 s19, 0, s19
	v_add_co_u32 v1, s18, v1, s18
	s_delay_alu instid0(VALU_DEP_1) | instskip(SKIP_1) | instid1(VALU_DEP_1)
	s_cmp_lg_u32 s18, 0
	s_addc_u32 s13, s13, s19
	v_readfirstlane_b32 s18, v1
	s_mul_i32 s19, s15, s13
	s_mul_hi_u32 s13, s15, s13
	s_delay_alu instid0(VALU_DEP_1) | instskip(NEXT) | instid1(SALU_CYCLE_1)
	s_mul_hi_u32 s18, s15, s18
	s_add_u32 s18, s18, s19
	s_addc_u32 s13, 0, s13
	s_add_u32 s18, s18, 0
	s_addc_u32 s13, s13, 0
	s_addc_u32 s18, 0, 0
	s_add_u32 s13, s13, 0
	s_addc_u32 s18, 0, s18
	s_mul_hi_u32 s19, s2, s13
	s_mul_i32 s21, s2, s18
	s_mul_i32 s22, s2, s13
	s_add_i32 s19, s19, s21
	v_sub_co_u32 v1, s21, s15, s22
	s_mul_i32 s20, s3, s13
	s_delay_alu instid0(SALU_CYCLE_1) | instskip(NEXT) | instid1(VALU_DEP_1)
	s_add_i32 s19, s19, s20
	v_sub_co_u32 v2, s22, v1, s2
	s_sub_i32 s20, 0, s19
	s_cmp_lg_u32 s21, 0
	s_subb_u32 s20, s20, s3
	s_cmp_lg_u32 s22, 0
	v_readfirstlane_b32 s22, v2
	s_subb_u32 s20, s20, 0
	s_delay_alu instid0(SALU_CYCLE_1) | instskip(SKIP_1) | instid1(VALU_DEP_1)
	s_cmp_ge_u32 s20, s3
	s_cselect_b32 s23, -1, 0
	s_cmp_ge_u32 s22, s2
	s_cselect_b32 s22, -1, 0
	s_cmp_eq_u32 s20, s3
	s_cselect_b32 s20, s22, s23
	s_add_u32 s22, s13, 1
	s_addc_u32 s23, s18, 0
	s_add_u32 s24, s13, 2
	s_addc_u32 s25, s18, 0
	s_cmp_lg_u32 s20, 0
	s_cselect_b32 s20, s24, s22
	s_cselect_b32 s22, s25, s23
	s_cmp_lg_u32 s21, 0
	v_readfirstlane_b32 s21, v1
	s_subb_u32 s19, 0, s19
	s_delay_alu instid0(SALU_CYCLE_1) | instskip(SKIP_1) | instid1(VALU_DEP_1)
	s_cmp_ge_u32 s19, s3
	s_cselect_b32 s23, -1, 0
	s_cmp_ge_u32 s21, s2
	s_cselect_b32 s2, -1, 0
	s_cmp_eq_u32 s19, s3
	s_cselect_b32 s2, s2, s23
	s_delay_alu instid0(SALU_CYCLE_1) | instskip(SKIP_2) | instid1(SALU_CYCLE_1)
	s_cmp_lg_u32 s2, 0
	s_cselect_b32 s3, s22, s18
	s_cselect_b32 s2, s20, s13
	s_xor_b64 s[2:3], s[2:3], s[16:17]
	s_delay_alu instid0(SALU_CYCLE_1)
	s_sub_u32 s2, s2, s16
	s_subb_u32 s3, s3, s16
	s_and_not1_b32 vcc_lo, exec_lo, s12
	s_cbranch_vccnz .LBB39_3
.LBB39_2:
	v_cvt_f32_u32_e32 v1, s14
	s_sub_i32 s3, 0, s14
	s_delay_alu instid0(VALU_DEP_1) | instskip(SKIP_2) | instid1(VALU_DEP_1)
	v_rcp_iflag_f32_e32 v1, v1
	s_waitcnt_depctr 0xfff
	v_mul_f32_e32 v1, 0x4f7ffffe, v1
	v_cvt_u32_f32_e32 v1, v1
	s_delay_alu instid0(VALU_DEP_1) | instskip(NEXT) | instid1(VALU_DEP_1)
	v_readfirstlane_b32 s2, v1
	s_mul_i32 s3, s3, s2
	s_delay_alu instid0(SALU_CYCLE_1) | instskip(NEXT) | instid1(SALU_CYCLE_1)
	s_mul_hi_u32 s3, s2, s3
	s_add_i32 s2, s2, s3
	s_delay_alu instid0(SALU_CYCLE_1) | instskip(NEXT) | instid1(SALU_CYCLE_1)
	s_mul_hi_u32 s2, s15, s2
	s_mul_i32 s3, s2, s14
	s_add_i32 s12, s2, 1
	s_sub_i32 s3, s15, s3
	s_delay_alu instid0(SALU_CYCLE_1)
	s_sub_i32 s13, s3, s14
	s_cmp_ge_u32 s3, s14
	s_cselect_b32 s2, s12, s2
	s_cselect_b32 s3, s13, s3
	s_add_i32 s12, s2, 1
	s_cmp_ge_u32 s3, s14
	s_mov_b32 s3, 0
	s_cselect_b32 s2, s12, s2
.LBB39_3:
	s_load_b64 s[12:13], s[0:1], 0x8
	s_mul_i32 s14, s2, s14
	s_delay_alu instid0(SALU_CYCLE_1) | instskip(NEXT) | instid1(SALU_CYCLE_1)
	s_sub_i32 s16, s15, s14
	s_ashr_i32 s17, s16, 31
	s_delay_alu instid0(SALU_CYCLE_1) | instskip(SKIP_1) | instid1(SALU_CYCLE_1)
	s_or_b64 s[18:19], s[16:17], s[10:11]
	s_mov_b32 s18, 0
	s_cmp_lg_u64 s[18:19], 0
	s_cbranch_scc0 .LBB39_29
; %bb.4:
	s_ashr_i32 s20, s11, 31
	s_delay_alu instid0(SALU_CYCLE_1) | instskip(SKIP_2) | instid1(SALU_CYCLE_1)
	s_add_u32 s22, s10, s20
	s_mov_b32 s21, s20
	s_addc_u32 s23, s11, s20
	s_xor_b64 s[22:23], s[22:23], s[20:21]
	s_delay_alu instid0(SALU_CYCLE_1) | instskip(SKIP_3) | instid1(VALU_DEP_1)
	v_cvt_f32_u32_e32 v1, s22
	v_cvt_f32_u32_e32 v2, s23
	s_sub_u32 s25, 0, s22
	s_subb_u32 s26, 0, s23
	v_fmamk_f32 v1, v2, 0x4f800000, v1
	s_delay_alu instid0(VALU_DEP_1) | instskip(SKIP_2) | instid1(VALU_DEP_1)
	v_rcp_f32_e32 v1, v1
	s_waitcnt_depctr 0xfff
	v_mul_f32_e32 v1, 0x5f7ffffc, v1
	v_mul_f32_e32 v2, 0x2f800000, v1
	s_delay_alu instid0(VALU_DEP_1) | instskip(NEXT) | instid1(VALU_DEP_1)
	v_trunc_f32_e32 v2, v2
	v_fmamk_f32 v1, v2, 0xcf800000, v1
	v_cvt_u32_f32_e32 v2, v2
	s_delay_alu instid0(VALU_DEP_2) | instskip(NEXT) | instid1(VALU_DEP_2)
	v_cvt_u32_f32_e32 v1, v1
	v_readfirstlane_b32 s14, v2
	s_delay_alu instid0(VALU_DEP_2) | instskip(NEXT) | instid1(VALU_DEP_2)
	v_readfirstlane_b32 s19, v1
	s_mul_i32 s24, s25, s14
	s_delay_alu instid0(VALU_DEP_1)
	s_mul_hi_u32 s28, s25, s19
	s_mul_i32 s27, s26, s19
	s_add_i32 s24, s28, s24
	s_mul_i32 s29, s25, s19
	s_add_i32 s24, s24, s27
	s_mul_hi_u32 s28, s19, s29
	s_mul_hi_u32 s30, s14, s29
	s_mul_i32 s27, s14, s29
	s_mul_hi_u32 s29, s19, s24
	s_mul_i32 s19, s19, s24
	s_mul_hi_u32 s31, s14, s24
	s_add_u32 s19, s28, s19
	s_addc_u32 s28, 0, s29
	s_add_u32 s19, s19, s27
	s_mul_i32 s24, s14, s24
	s_addc_u32 s19, s28, s30
	s_addc_u32 s27, s31, 0
	s_add_u32 s19, s19, s24
	s_addc_u32 s24, 0, s27
	v_add_co_u32 v1, s19, v1, s19
	s_delay_alu instid0(VALU_DEP_1) | instskip(SKIP_1) | instid1(VALU_DEP_1)
	s_cmp_lg_u32 s19, 0
	s_addc_u32 s14, s14, s24
	v_readfirstlane_b32 s19, v1
	s_mul_i32 s27, s25, s14
	s_mov_b32 s24, s17
	s_delay_alu instid0(VALU_DEP_1)
	s_mul_hi_u32 s28, s25, s19
	s_mul_i32 s26, s26, s19
	s_add_i32 s27, s28, s27
	s_mul_i32 s25, s25, s19
	s_add_i32 s27, s27, s26
	s_mul_hi_u32 s28, s14, s25
	s_mul_i32 s29, s14, s25
	s_mul_hi_u32 s25, s19, s25
	s_mul_hi_u32 s30, s19, s27
	s_mul_i32 s19, s19, s27
	s_mul_hi_u32 s26, s14, s27
	s_add_u32 s19, s25, s19
	s_addc_u32 s25, 0, s30
	s_add_u32 s19, s19, s29
	s_mul_i32 s27, s14, s27
	s_addc_u32 s19, s25, s28
	s_addc_u32 s25, s26, 0
	s_add_u32 s19, s19, s27
	s_addc_u32 s26, 0, s25
	v_add_co_u32 v1, s19, v1, s19
	s_delay_alu instid0(VALU_DEP_1)
	s_cmp_lg_u32 s19, 0
	s_mov_b32 s25, s17
	s_addc_u32 s14, s14, s26
	s_add_u32 s26, s16, s17
	v_readfirstlane_b32 s19, v1
	s_addc_u32 s27, s17, s17
	s_delay_alu instid0(SALU_CYCLE_1) | instskip(NEXT) | instid1(SALU_CYCLE_1)
	s_xor_b64 s[26:27], s[26:27], s[24:25]
	s_mul_i32 s29, s26, s14
	s_delay_alu instid0(VALU_DEP_1)
	s_mul_hi_u32 s30, s26, s19
	s_mul_hi_u32 s28, s26, s14
	;; [unrolled: 1-line block ×3, first 2 shown]
	s_mul_i32 s19, s27, s19
	s_add_u32 s29, s30, s29
	s_addc_u32 s28, 0, s28
	s_mul_hi_u32 s31, s27, s14
	s_add_u32 s19, s29, s19
	s_mul_i32 s14, s27, s14
	s_addc_u32 s19, s28, s33
	s_addc_u32 s28, s31, 0
	s_add_u32 s14, s19, s14
	s_addc_u32 s19, 0, s28
	s_mul_i32 s31, s22, s14
	s_mul_hi_u32 s28, s22, s14
	s_mul_i32 s30, s22, s19
	v_sub_co_u32 v1, s26, s26, s31
	s_mul_i32 s29, s23, s14
	s_add_i32 s28, s28, s30
	s_delay_alu instid0(SALU_CYCLE_1) | instskip(NEXT) | instid1(VALU_DEP_1)
	s_add_i32 s28, s28, s29
	v_sub_co_u32 v2, s30, v1, s22
	s_sub_i32 s29, s27, s28
	s_cmp_lg_u32 s26, 0
	s_subb_u32 s29, s29, s23
	s_cmp_lg_u32 s30, 0
	v_readfirstlane_b32 s30, v2
	s_subb_u32 s29, s29, 0
	s_delay_alu instid0(SALU_CYCLE_1) | instskip(SKIP_1) | instid1(VALU_DEP_1)
	s_cmp_ge_u32 s29, s23
	s_cselect_b32 s31, -1, 0
	s_cmp_ge_u32 s30, s22
	s_cselect_b32 s30, -1, 0
	s_cmp_eq_u32 s29, s23
	s_cselect_b32 s29, s30, s31
	s_add_u32 s30, s14, 1
	s_addc_u32 s31, s19, 0
	s_add_u32 s33, s14, 2
	s_addc_u32 s34, s19, 0
	s_cmp_lg_u32 s29, 0
	s_cselect_b32 s29, s33, s30
	s_cselect_b32 s30, s34, s31
	s_cmp_lg_u32 s26, 0
	v_readfirstlane_b32 s26, v1
	s_subb_u32 s27, s27, s28
	s_delay_alu instid0(SALU_CYCLE_1) | instskip(SKIP_1) | instid1(VALU_DEP_1)
	s_cmp_ge_u32 s27, s23
	s_cselect_b32 s28, -1, 0
	s_cmp_ge_u32 s26, s22
	s_cselect_b32 s22, -1, 0
	s_cmp_eq_u32 s27, s23
	s_cselect_b32 s22, s22, s28
	s_delay_alu instid0(SALU_CYCLE_1) | instskip(SKIP_3) | instid1(SALU_CYCLE_1)
	s_cmp_lg_u32 s22, 0
	s_cselect_b32 s23, s30, s19
	s_cselect_b32 s22, s29, s14
	s_xor_b64 s[20:21], s[24:25], s[20:21]
	s_xor_b64 s[22:23], s[22:23], s[20:21]
	s_delay_alu instid0(SALU_CYCLE_1)
	s_sub_u32 s20, s22, s20
	s_subb_u32 s21, s23, s21
	s_and_not1_b32 vcc_lo, exec_lo, s18
	s_cbranch_vccnz .LBB39_6
.LBB39_5:
	v_cvt_f32_u32_e32 v1, s10
	s_sub_i32 s18, 0, s10
	s_mov_b32 s21, 0
	s_delay_alu instid0(VALU_DEP_1) | instskip(SKIP_2) | instid1(VALU_DEP_1)
	v_rcp_iflag_f32_e32 v1, v1
	s_waitcnt_depctr 0xfff
	v_mul_f32_e32 v1, 0x4f7ffffe, v1
	v_cvt_u32_f32_e32 v1, v1
	s_delay_alu instid0(VALU_DEP_1) | instskip(NEXT) | instid1(VALU_DEP_1)
	v_readfirstlane_b32 s14, v1
	s_mul_i32 s18, s18, s14
	s_delay_alu instid0(SALU_CYCLE_1) | instskip(NEXT) | instid1(SALU_CYCLE_1)
	s_mul_hi_u32 s18, s14, s18
	s_add_i32 s14, s14, s18
	s_delay_alu instid0(SALU_CYCLE_1) | instskip(NEXT) | instid1(SALU_CYCLE_1)
	s_mul_hi_u32 s14, s16, s14
	s_mul_i32 s18, s14, s10
	s_add_i32 s19, s14, 1
	s_sub_i32 s18, s16, s18
	s_delay_alu instid0(SALU_CYCLE_1)
	s_sub_i32 s20, s18, s10
	s_cmp_ge_u32 s18, s10
	s_cselect_b32 s14, s19, s14
	s_cselect_b32 s18, s20, s18
	s_add_i32 s19, s14, 1
	s_cmp_ge_u32 s18, s10
	s_cselect_b32 s20, s19, s14
.LBB39_6:
	s_delay_alu instid0(SALU_CYCLE_1)
	s_mul_i32 s11, s20, s11
	s_mul_hi_u32 s14, s20, s10
	s_mul_i32 s9, s2, s9
	s_add_i32 s11, s14, s11
	s_mul_i32 s14, s21, s10
	s_mul_i32 s10, s20, s10
	s_add_i32 s11, s11, s14
	s_sub_u32 s14, s16, s10
	s_subb_u32 s16, s17, s11
	s_mul_hi_u32 s17, s2, s8
	s_bfe_i64 s[10:11], s[2:3], 0x200000
	s_add_i32 s3, s17, s9
	s_mul_i32 s9, s11, s8
	s_mul_i32 s2, s2, s8
	s_add_i32 s3, s3, s9
	s_load_b32 s18, s[0:1], 0x5c
	s_lshl_b64 s[8:9], s[2:3], 1
	s_mul_i32 s7, s20, s7
	s_waitcnt lgkmcnt(0)
	s_add_u32 s11, s12, s8
	s_addc_u32 s17, s13, s9
	s_mul_hi_u32 s10, s20, s6
	s_bfe_i64 s[2:3], s[20:21], 0x200000
	s_add_i32 s2, s10, s7
	s_load_b32 s10, s[0:1], 0x48
	s_mul_i32 s3, s3, s6
	s_mul_i32 s16, s16, s4
	s_add_i32 s3, s2, s3
	s_mul_i32 s2, s20, s6
	s_delay_alu instid0(SALU_CYCLE_1)
	s_lshl_b64 s[6:7], s[2:3], 1
	s_mul_i32 s2, s14, s5
	s_mul_hi_u32 s3, s14, s4
	s_add_u32 s11, s11, s6
	s_addc_u32 s17, s17, s7
	s_add_i32 s2, s3, s2
	s_delay_alu instid0(SALU_CYCLE_1) | instskip(SKIP_1) | instid1(SALU_CYCLE_1)
	s_add_i32 s3, s2, s16
	s_mul_i32 s2, s14, s4
	s_lshl_b64 s[4:5], s[2:3], 1
	s_delay_alu instid0(SALU_CYCLE_1) | instskip(SKIP_4) | instid1(SALU_CYCLE_1)
	s_add_u32 s11, s11, s4
	s_addc_u32 s14, s17, s5
	s_and_b32 s16, s18, 0xffff
	s_bitcmp1_b32 s11, 0
	s_cselect_b32 s2, -1, 0
	s_and_b32 vcc_lo, exec_lo, s2
	s_cbranch_vccz .LBB39_12
; %bb.7:
	v_mov_b32_e32 v3, 0
	s_waitcnt lgkmcnt(0)
	s_min_i32 s2, s10, 0
	s_mov_b32 s17, 0
	s_sub_i32 s19, s10, s2
	s_mov_b32 s18, exec_lo
	v_cmpx_gt_i32_e64 s19, v0
	s_cbranch_execz .LBB39_11
; %bb.8:
	s_ashr_i32 s3, s2, 31
	s_add_u32 s20, s4, s8
	s_addc_u32 s21, s5, s9
	s_add_u32 s20, s20, s6
	s_addc_u32 s21, s21, s7
	s_lshl_b64 s[2:3], s[2:3], 1
	v_dual_mov_b32 v4, v0 :: v_dual_lshlrev_b32 v1, 1, v0
	s_add_u32 s2, s20, s2
	s_addc_u32 s3, s21, s3
	s_add_u32 s2, s12, s2
	s_addc_u32 s3, s13, s3
	v_add_co_u32 v1, s2, s2, v1
	s_delay_alu instid0(VALU_DEP_1)
	v_add_co_ci_u32_e64 v2, null, s3, 0, s2
	v_mov_b32_e32 v3, 0
	s_mov_b32 s3, 0
	s_lshl_b32 s20, s16, 1
.LBB39_9:                               ; =>This Inner Loop Header: Depth=1
	global_load_u16 v5, v[1:2], off
	v_add_nc_u32_e32 v4, s16, v4
	v_add_co_u32 v1, vcc_lo, v1, s20
	v_add_co_ci_u32_e32 v2, vcc_lo, 0, v2, vcc_lo
	s_delay_alu instid0(VALU_DEP_3) | instskip(NEXT) | instid1(VALU_DEP_1)
	v_cmp_le_i32_e64 s2, s19, v4
	s_or_b32 s3, s2, s3
	s_waitcnt vmcnt(0)
	v_fma_mix_f32 v3, v5, v5, v3 op_sel_hi:[1,1,0]
	s_and_not1_b32 exec_lo, exec_lo, s3
	s_cbranch_execnz .LBB39_9
; %bb.10:
	s_or_b32 exec_lo, exec_lo, s3
.LBB39_11:
	s_delay_alu instid0(SALU_CYCLE_1)
	s_or_b32 exec_lo, exec_lo, s18
	v_cmp_gt_i32_e64 s2, s10, v0
	s_and_not1_b32 vcc_lo, exec_lo, s17
	s_cbranch_vccz .LBB39_13
	s_branch .LBB39_18
.LBB39_12:
                                        ; implicit-def: $vgpr3
	s_waitcnt lgkmcnt(0)
	v_cmp_gt_i32_e64 s2, s10, v0
.LBB39_13:
	v_mov_b32_e32 v3, 0
	s_delay_alu instid0(VALU_DEP_2)
	s_and_saveexec_b32 s3, s2
	s_cbranch_execz .LBB39_17
; %bb.14:
	s_add_u32 s2, s4, s8
	s_addc_u32 s4, s5, s9
	v_dual_mov_b32 v4, v0 :: v_dual_lshlrev_b32 v1, 1, v0
	s_add_u32 s2, s2, s6
	s_addc_u32 s4, s4, s7
	s_add_u32 s2, s12, s2
	s_addc_u32 s4, s13, s4
	v_add_co_u32 v1, s2, s2, v1
	s_delay_alu instid0(VALU_DEP_1)
	v_add_co_ci_u32_e64 v2, null, s4, 0, s2
	v_mov_b32_e32 v3, 0
	s_mov_b32 s4, 0
	s_lshl_b32 s5, s16, 1
.LBB39_15:                              ; =>This Inner Loop Header: Depth=1
	global_load_u16 v5, v[1:2], off
	v_add_nc_u32_e32 v4, s16, v4
	v_add_co_u32 v1, vcc_lo, v1, s5
	v_add_co_ci_u32_e32 v2, vcc_lo, 0, v2, vcc_lo
	s_delay_alu instid0(VALU_DEP_3) | instskip(NEXT) | instid1(VALU_DEP_1)
	v_cmp_le_i32_e64 s2, s10, v4
	s_or_b32 s4, s2, s4
	s_waitcnt vmcnt(0)
	v_fma_mix_f32 v3, v5, v5, v3 op_sel_hi:[1,1,0]
	s_and_not1_b32 exec_lo, exec_lo, s4
	s_cbranch_execnz .LBB39_15
; %bb.16:
	s_or_b32 exec_lo, exec_lo, s4
.LBB39_17:
	s_delay_alu instid0(SALU_CYCLE_1)
	s_or_b32 exec_lo, exec_lo, s3
.LBB39_18:
	v_mbcnt_lo_u32_b32 v1, -1, 0
	s_mov_b32 s2, exec_lo
	s_delay_alu instid0(VALU_DEP_1) | instskip(SKIP_2) | instid1(VALU_DEP_2)
	v_cmp_ne_u32_e32 vcc_lo, 31, v1
	v_add_co_ci_u32_e32 v2, vcc_lo, 0, v1, vcc_lo
	v_cmp_gt_u32_e32 vcc_lo, 30, v1
	v_lshlrev_b32_e32 v2, 2, v2
	v_cndmask_b32_e64 v6, 0, 1, vcc_lo
	ds_bpermute_b32 v5, v2, v3
	s_waitcnt lgkmcnt(0)
	v_dual_add_f32 v7, v3, v5 :: v_dual_and_b32 v4, 0x3e0, v0
	s_delay_alu instid0(VALU_DEP_1) | instskip(SKIP_1) | instid1(VALU_DEP_1)
	v_sub_nc_u32_e64 v12, s16, v4 clamp
	v_add_nc_u32_e32 v4, 1, v1
	v_cmp_lt_u32_e32 vcc_lo, v4, v12
	s_delay_alu instid0(VALU_DEP_4) | instskip(SKIP_2) | instid1(VALU_DEP_1)
	v_cndmask_b32_e32 v7, v3, v7, vcc_lo
	v_cmp_gt_u32_e32 vcc_lo, 28, v1
	v_cndmask_b32_e64 v3, 0, 1, vcc_lo
	v_lshlrev_b32_e32 v8, 2, v3
	v_add_nc_u32_e32 v3, 2, v1
	s_delay_alu instid0(VALU_DEP_1) | instskip(SKIP_1) | instid1(VALU_DEP_1)
	v_cmp_lt_u32_e32 vcc_lo, v3, v12
	v_lshlrev_b32_e32 v6, 1, v6
	v_add_lshl_u32 v5, v6, v1, 2
	ds_bpermute_b32 v6, v5, v7
	s_waitcnt lgkmcnt(0)
	v_add_f32_e32 v9, v7, v6
	v_add_lshl_u32 v6, v8, v1, 2
	s_delay_alu instid0(VALU_DEP_2) | instskip(SKIP_3) | instid1(VALU_DEP_1)
	v_cndmask_b32_e32 v9, v7, v9, vcc_lo
	v_cmp_gt_u32_e32 vcc_lo, 24, v1
	ds_bpermute_b32 v8, v6, v9
	v_cndmask_b32_e64 v7, 0, 1, vcc_lo
	v_lshlrev_b32_e32 v10, 3, v7
	v_add_nc_u32_e32 v7, 4, v1
	s_delay_alu instid0(VALU_DEP_1) | instskip(SKIP_3) | instid1(VALU_DEP_2)
	v_cmp_lt_u32_e32 vcc_lo, v7, v12
	s_waitcnt lgkmcnt(0)
	v_add_f32_e32 v11, v9, v8
	v_add_lshl_u32 v8, v10, v1, 2
	v_cndmask_b32_e32 v11, v9, v11, vcc_lo
	v_cmp_gt_u32_e32 vcc_lo, 16, v1
	ds_bpermute_b32 v10, v8, v11
	v_cndmask_b32_e64 v9, 0, 1, vcc_lo
	s_delay_alu instid0(VALU_DEP_1) | instskip(SKIP_1) | instid1(VALU_DEP_1)
	v_lshlrev_b32_e32 v13, 4, v9
	v_add_nc_u32_e32 v9, 8, v1
	v_cmp_lt_u32_e32 vcc_lo, v9, v12
	s_waitcnt lgkmcnt(0)
	v_add_f32_e32 v14, v11, v10
	v_add_lshl_u32 v10, v13, v1, 2
	s_delay_alu instid0(VALU_DEP_2)
	v_cndmask_b32_e32 v13, v11, v14, vcc_lo
	v_add_nc_u32_e32 v11, 16, v1
	ds_bpermute_b32 v14, v10, v13
	v_cmp_lt_u32_e32 vcc_lo, v11, v12
	s_waitcnt lgkmcnt(0)
	v_add_f32_e32 v14, v13, v14
	s_delay_alu instid0(VALU_DEP_1)
	v_cndmask_b32_e32 v12, v13, v14, vcc_lo
	v_cmpx_eq_u32_e32 0, v1
	s_cbranch_execz .LBB39_20
; %bb.19:
	v_lshrrev_b32_e32 v13, 3, v0
	s_delay_alu instid0(VALU_DEP_1)
	v_and_b32_e32 v13, 0x7c, v13
	ds_store_b32 v13, v12
.LBB39_20:
	s_or_b32 exec_lo, exec_lo, s2
	s_delay_alu instid0(SALU_CYCLE_1)
	s_mov_b32 s2, exec_lo
	s_waitcnt lgkmcnt(0)
	s_barrier
	buffer_gl0_inv
	v_cmpx_gt_u32_e32 32, v0
	s_cbranch_execz .LBB39_22
; %bb.21:
	v_lshlrev_b32_e32 v1, 2, v1
	s_add_i32 s3, s16, 31
	s_delay_alu instid0(SALU_CYCLE_1) | instskip(NEXT) | instid1(SALU_CYCLE_1)
	s_lshr_b32 s3, s3, 5
	v_cmp_gt_u32_e32 vcc_lo, s3, v4
	ds_load_b32 v1, v1
	s_waitcnt lgkmcnt(0)
	ds_bpermute_b32 v2, v2, v1
	s_waitcnt lgkmcnt(0)
	v_add_f32_e32 v2, v1, v2
	s_delay_alu instid0(VALU_DEP_1) | instskip(SKIP_4) | instid1(VALU_DEP_1)
	v_cndmask_b32_e32 v1, v1, v2, vcc_lo
	v_cmp_gt_u32_e32 vcc_lo, s3, v3
	ds_bpermute_b32 v2, v5, v1
	s_waitcnt lgkmcnt(0)
	v_add_f32_e32 v2, v1, v2
	v_cndmask_b32_e32 v1, v1, v2, vcc_lo
	v_cmp_gt_u32_e32 vcc_lo, s3, v7
	ds_bpermute_b32 v2, v6, v1
	s_waitcnt lgkmcnt(0)
	v_add_f32_e32 v2, v1, v2
	s_delay_alu instid0(VALU_DEP_1) | instskip(SKIP_4) | instid1(VALU_DEP_1)
	v_cndmask_b32_e32 v1, v1, v2, vcc_lo
	v_cmp_gt_u32_e32 vcc_lo, s3, v9
	ds_bpermute_b32 v2, v8, v1
	s_waitcnt lgkmcnt(0)
	v_add_f32_e32 v2, v1, v2
	v_cndmask_b32_e32 v1, v1, v2, vcc_lo
	v_cmp_gt_u32_e32 vcc_lo, s3, v11
	ds_bpermute_b32 v2, v10, v1
	s_waitcnt lgkmcnt(0)
	v_add_f32_e32 v2, v1, v2
	s_delay_alu instid0(VALU_DEP_1)
	v_cndmask_b32_e32 v12, v1, v2, vcc_lo
.LBB39_22:
	s_or_b32 exec_lo, exec_lo, s2
	s_delay_alu instid0(SALU_CYCLE_1)
	s_mov_b32 s2, exec_lo
	v_cmpx_eq_u32_e32 0, v0
	s_cbranch_execz .LBB39_24
; %bb.23:
	v_cvt_f32_i32_e32 v1, s10
	s_load_b32 s3, s[0:1], 0x40
	s_delay_alu instid0(VALU_DEP_1) | instskip(SKIP_1) | instid1(VALU_DEP_2)
	v_div_scale_f32 v2, null, v1, v1, v12
	v_div_scale_f32 v5, vcc_lo, v12, v1, v12
	v_rcp_f32_e32 v3, v2
	s_waitcnt_depctr 0xfff
	v_fma_f32 v4, -v2, v3, 1.0
	s_delay_alu instid0(VALU_DEP_1) | instskip(NEXT) | instid1(VALU_DEP_1)
	v_fmac_f32_e32 v3, v4, v3
	v_mul_f32_e32 v4, v5, v3
	s_delay_alu instid0(VALU_DEP_1) | instskip(NEXT) | instid1(VALU_DEP_1)
	v_fma_f32 v6, -v2, v4, v5
	v_fmac_f32_e32 v4, v6, v3
	s_delay_alu instid0(VALU_DEP_1) | instskip(NEXT) | instid1(VALU_DEP_1)
	v_fma_f32 v2, -v2, v4, v5
	v_div_fmas_f32 v2, v2, v3, v4
	s_delay_alu instid0(VALU_DEP_1) | instskip(SKIP_1) | instid1(VALU_DEP_1)
	v_div_fixup_f32 v1, v2, v1, v12
	s_waitcnt lgkmcnt(0)
	v_add_f32_e32 v1, s3, v1
	s_delay_alu instid0(VALU_DEP_1) | instskip(SKIP_1) | instid1(VALU_DEP_2)
	v_mul_f32_e32 v2, 0x4b800000, v1
	v_cmp_gt_f32_e32 vcc_lo, 0x800000, v1
	v_cndmask_b32_e32 v1, v1, v2, vcc_lo
	s_delay_alu instid0(VALU_DEP_1) | instskip(SKIP_2) | instid1(VALU_DEP_1)
	v_rsq_f32_e32 v1, v1
	s_waitcnt_depctr 0xfff
	v_mul_f32_e32 v2, 0x45800000, v1
	v_dual_cndmask_b32 v1, v1, v2 :: v_dual_mov_b32 v2, 0
	ds_store_b32 v2, v1 offset:128
.LBB39_24:
	s_or_b32 exec_lo, exec_lo, s2
	s_waitcnt lgkmcnt(0)
	s_barrier
	buffer_gl0_inv
	s_mov_b32 s2, exec_lo
	v_cmpx_gt_i32_e64 s10, v0
	s_cbranch_execz .LBB39_27
; %bb.25:
	v_mov_b32_e32 v1, 0
	s_clause 0x1
	s_load_b64 s[4:5], s[0:1], 0x0
	s_load_b64 s[2:3], s[0:1], 0x38
	s_mul_i32 s0, s15, s10
	s_mov_b32 s1, 0
	s_delay_alu instid0(SALU_CYCLE_1)
	s_lshl_b64 s[6:7], s[0:1], 1
	ds_load_b32 v2, v1 offset:128
	s_waitcnt lgkmcnt(0)
	s_add_u32 s4, s4, s6
	s_addc_u32 s5, s5, s7
	.p2align	6
.LBB39_26:                              ; =>This Inner Loop Header: Depth=1
	v_ashrrev_i32_e32 v1, 31, v0
	s_delay_alu instid0(VALU_DEP_1) | instskip(SKIP_1) | instid1(VALU_DEP_2)
	v_lshlrev_b64 v[3:4], 1, v[0:1]
	v_add_nc_u32_e32 v0, s16, v0
	v_add_co_u32 v5, vcc_lo, s11, v3
	s_delay_alu instid0(VALU_DEP_3)
	v_add_co_ci_u32_e32 v6, vcc_lo, s14, v4, vcc_lo
	v_add_co_u32 v7, vcc_lo, s2, v3
	v_add_co_ci_u32_e32 v8, vcc_lo, s3, v4, vcc_lo
	v_cmp_le_i32_e32 vcc_lo, s10, v0
	global_load_u16 v1, v[5:6], off
	global_load_u16 v5, v[7:8], off
	v_add_co_u32 v3, s0, s4, v3
	s_delay_alu instid0(VALU_DEP_1) | instskip(SKIP_4) | instid1(VALU_DEP_1)
	v_add_co_ci_u32_e64 v4, s0, s5, v4, s0
	s_or_b32 s1, vcc_lo, s1
	s_waitcnt vmcnt(1)
	v_fma_mixlo_f16 v1, v2, v1, 0 op_sel_hi:[0,1,0]
	s_waitcnt vmcnt(0)
	v_mul_f16_e32 v1, v5, v1
	global_store_b16 v[3:4], v1, off
	s_and_not1_b32 exec_lo, exec_lo, s1
	s_cbranch_execnz .LBB39_26
.LBB39_27:
	s_nop 0
	s_sendmsg sendmsg(MSG_DEALLOC_VGPRS)
	s_endpgm
.LBB39_28:
                                        ; implicit-def: $sgpr2_sgpr3
	s_branch .LBB39_2
.LBB39_29:
                                        ; implicit-def: $sgpr20_sgpr21
	s_branch .LBB39_5
	.section	.rodata,"a",@progbits
	.p2align	6, 0x0
	.amdhsa_kernel _ZN4vllm15rms_norm_kernelIN3c104HalfELi1ELi4EEEvPT_PKS3_lllllS6_fii
		.amdhsa_group_segment_fixed_size 132
		.amdhsa_private_segment_fixed_size 0
		.amdhsa_kernarg_size 336
		.amdhsa_user_sgpr_count 15
		.amdhsa_user_sgpr_dispatch_ptr 0
		.amdhsa_user_sgpr_queue_ptr 0
		.amdhsa_user_sgpr_kernarg_segment_ptr 1
		.amdhsa_user_sgpr_dispatch_id 0
		.amdhsa_user_sgpr_private_segment_size 0
		.amdhsa_wavefront_size32 1
		.amdhsa_uses_dynamic_stack 0
		.amdhsa_enable_private_segment 0
		.amdhsa_system_sgpr_workgroup_id_x 1
		.amdhsa_system_sgpr_workgroup_id_y 0
		.amdhsa_system_sgpr_workgroup_id_z 0
		.amdhsa_system_sgpr_workgroup_info 0
		.amdhsa_system_vgpr_workitem_id 0
		.amdhsa_next_free_vgpr 15
		.amdhsa_next_free_sgpr 35
		.amdhsa_reserve_vcc 1
		.amdhsa_float_round_mode_32 0
		.amdhsa_float_round_mode_16_64 0
		.amdhsa_float_denorm_mode_32 3
		.amdhsa_float_denorm_mode_16_64 3
		.amdhsa_dx10_clamp 1
		.amdhsa_ieee_mode 1
		.amdhsa_fp16_overflow 0
		.amdhsa_workgroup_processor_mode 1
		.amdhsa_memory_ordered 1
		.amdhsa_forward_progress 0
		.amdhsa_shared_vgpr_count 0
		.amdhsa_exception_fp_ieee_invalid_op 0
		.amdhsa_exception_fp_denorm_src 0
		.amdhsa_exception_fp_ieee_div_zero 0
		.amdhsa_exception_fp_ieee_overflow 0
		.amdhsa_exception_fp_ieee_underflow 0
		.amdhsa_exception_fp_ieee_inexact 0
		.amdhsa_exception_int_div_zero 0
	.end_amdhsa_kernel
	.section	.text._ZN4vllm15rms_norm_kernelIN3c104HalfELi1ELi4EEEvPT_PKS3_lllllS6_fii,"axG",@progbits,_ZN4vllm15rms_norm_kernelIN3c104HalfELi1ELi4EEEvPT_PKS3_lllllS6_fii,comdat
.Lfunc_end39:
	.size	_ZN4vllm15rms_norm_kernelIN3c104HalfELi1ELi4EEEvPT_PKS3_lllllS6_fii, .Lfunc_end39-_ZN4vllm15rms_norm_kernelIN3c104HalfELi1ELi4EEEvPT_PKS3_lllllS6_fii
                                        ; -- End function
	.section	.AMDGPU.csdata,"",@progbits
; Kernel info:
; codeLenInByte = 3108
; NumSgprs: 37
; NumVgprs: 15
; ScratchSize: 0
; MemoryBound: 0
; FloatMode: 240
; IeeeMode: 1
; LDSByteSize: 132 bytes/workgroup (compile time only)
; SGPRBlocks: 4
; VGPRBlocks: 1
; NumSGPRsForWavesPerEU: 37
; NumVGPRsForWavesPerEU: 15
; Occupancy: 16
; WaveLimiterHint : 0
; COMPUTE_PGM_RSRC2:SCRATCH_EN: 0
; COMPUTE_PGM_RSRC2:USER_SGPR: 15
; COMPUTE_PGM_RSRC2:TRAP_HANDLER: 0
; COMPUTE_PGM_RSRC2:TGID_X_EN: 1
; COMPUTE_PGM_RSRC2:TGID_Y_EN: 0
; COMPUTE_PGM_RSRC2:TGID_Z_EN: 0
; COMPUTE_PGM_RSRC2:TIDIG_COMP_CNT: 0
	.section	.text._ZN4vllm15rms_norm_kernelIN3c108BFloat16ELi16ELi4EEEvPT_PKS3_lllllS6_fii,"axG",@progbits,_ZN4vllm15rms_norm_kernelIN3c108BFloat16ELi16ELi4EEEvPT_PKS3_lllllS6_fii,comdat
	.protected	_ZN4vllm15rms_norm_kernelIN3c108BFloat16ELi16ELi4EEEvPT_PKS3_lllllS6_fii ; -- Begin function _ZN4vllm15rms_norm_kernelIN3c108BFloat16ELi16ELi4EEEvPT_PKS3_lllllS6_fii
	.globl	_ZN4vllm15rms_norm_kernelIN3c108BFloat16ELi16ELi4EEEvPT_PKS3_lllllS6_fii
	.p2align	8
	.type	_ZN4vllm15rms_norm_kernelIN3c108BFloat16ELi16ELi4EEEvPT_PKS3_lllllS6_fii,@function
_ZN4vllm15rms_norm_kernelIN3c108BFloat16ELi16ELi4EEEvPT_PKS3_lllllS6_fii: ; @_ZN4vllm15rms_norm_kernelIN3c108BFloat16ELi16ELi4EEEvPT_PKS3_lllllS6_fii
; %bb.0:
	s_clause 0x1
	s_load_b256 s[4:11], s[0:1], 0x10
	s_load_b64 s[2:3], s[0:1], 0x30
	s_waitcnt lgkmcnt(0)
	s_mul_i32 s12, s2, s11
	s_mul_hi_u32 s13, s2, s10
	s_mul_i32 s3, s3, s10
	s_add_i32 s13, s13, s12
	s_mov_b32 s12, 0
	s_add_i32 s13, s13, s3
	s_mul_i32 s14, s2, s10
	s_cmp_lg_u64 s[12:13], 0
	s_cbranch_scc0 .LBB40_36
; %bb.1:
	s_ashr_i32 s16, s13, 31
	s_delay_alu instid0(SALU_CYCLE_1) | instskip(SKIP_2) | instid1(SALU_CYCLE_1)
	s_add_u32 s2, s14, s16
	s_mov_b32 s17, s16
	s_addc_u32 s3, s13, s16
	s_xor_b64 s[2:3], s[2:3], s[16:17]
	s_delay_alu instid0(SALU_CYCLE_1) | instskip(SKIP_3) | instid1(VALU_DEP_1)
	v_cvt_f32_u32_e32 v1, s2
	v_cvt_f32_u32_e32 v2, s3
	s_sub_u32 s19, 0, s2
	s_subb_u32 s20, 0, s3
	v_fmamk_f32 v1, v2, 0x4f800000, v1
	s_delay_alu instid0(VALU_DEP_1) | instskip(SKIP_2) | instid1(VALU_DEP_1)
	v_rcp_f32_e32 v1, v1
	s_waitcnt_depctr 0xfff
	v_mul_f32_e32 v1, 0x5f7ffffc, v1
	v_mul_f32_e32 v2, 0x2f800000, v1
	s_delay_alu instid0(VALU_DEP_1) | instskip(NEXT) | instid1(VALU_DEP_1)
	v_trunc_f32_e32 v2, v2
	v_fmamk_f32 v1, v2, 0xcf800000, v1
	v_cvt_u32_f32_e32 v2, v2
	s_delay_alu instid0(VALU_DEP_2) | instskip(NEXT) | instid1(VALU_DEP_2)
	v_cvt_u32_f32_e32 v1, v1
	v_readfirstlane_b32 s13, v2
	s_delay_alu instid0(VALU_DEP_2) | instskip(NEXT) | instid1(VALU_DEP_2)
	v_readfirstlane_b32 s18, v1
	s_mul_i32 s21, s19, s13
	s_delay_alu instid0(VALU_DEP_1)
	s_mul_hi_u32 s23, s19, s18
	s_mul_i32 s22, s20, s18
	s_add_i32 s21, s23, s21
	s_mul_i32 s24, s19, s18
	s_add_i32 s21, s21, s22
	s_mul_hi_u32 s23, s18, s24
	s_mul_hi_u32 s25, s13, s24
	s_mul_i32 s22, s13, s24
	s_mul_hi_u32 s24, s18, s21
	s_mul_i32 s18, s18, s21
	s_mul_hi_u32 s26, s13, s21
	s_add_u32 s18, s23, s18
	s_addc_u32 s23, 0, s24
	s_add_u32 s18, s18, s22
	s_mul_i32 s21, s13, s21
	s_addc_u32 s18, s23, s25
	s_addc_u32 s22, s26, 0
	s_add_u32 s18, s18, s21
	s_addc_u32 s21, 0, s22
	v_add_co_u32 v1, s18, v1, s18
	s_delay_alu instid0(VALU_DEP_1) | instskip(SKIP_1) | instid1(VALU_DEP_1)
	s_cmp_lg_u32 s18, 0
	s_addc_u32 s13, s13, s21
	v_readfirstlane_b32 s18, v1
	s_mul_i32 s21, s19, s13
	s_delay_alu instid0(VALU_DEP_1)
	s_mul_hi_u32 s22, s19, s18
	s_mul_i32 s20, s20, s18
	s_add_i32 s21, s22, s21
	s_mul_i32 s19, s19, s18
	s_add_i32 s21, s21, s20
	s_mul_hi_u32 s22, s13, s19
	s_mul_i32 s23, s13, s19
	s_mul_hi_u32 s19, s18, s19
	s_mul_hi_u32 s24, s18, s21
	s_mul_i32 s18, s18, s21
	s_mul_hi_u32 s20, s13, s21
	s_add_u32 s18, s19, s18
	s_addc_u32 s19, 0, s24
	s_add_u32 s18, s18, s23
	s_mul_i32 s21, s13, s21
	s_addc_u32 s18, s19, s22
	s_addc_u32 s19, s20, 0
	s_add_u32 s18, s18, s21
	s_addc_u32 s19, 0, s19
	v_add_co_u32 v1, s18, v1, s18
	s_delay_alu instid0(VALU_DEP_1) | instskip(SKIP_1) | instid1(VALU_DEP_1)
	s_cmp_lg_u32 s18, 0
	s_addc_u32 s13, s13, s19
	v_readfirstlane_b32 s18, v1
	s_mul_i32 s19, s15, s13
	s_mul_hi_u32 s13, s15, s13
	s_delay_alu instid0(VALU_DEP_1) | instskip(NEXT) | instid1(SALU_CYCLE_1)
	s_mul_hi_u32 s18, s15, s18
	s_add_u32 s18, s18, s19
	s_addc_u32 s13, 0, s13
	s_add_u32 s18, s18, 0
	s_addc_u32 s13, s13, 0
	s_addc_u32 s18, 0, 0
	s_add_u32 s13, s13, 0
	s_addc_u32 s18, 0, s18
	s_mul_hi_u32 s19, s2, s13
	s_mul_i32 s21, s2, s18
	s_mul_i32 s22, s2, s13
	s_add_i32 s19, s19, s21
	v_sub_co_u32 v1, s21, s15, s22
	s_mul_i32 s20, s3, s13
	s_delay_alu instid0(SALU_CYCLE_1) | instskip(NEXT) | instid1(VALU_DEP_1)
	s_add_i32 s19, s19, s20
	v_sub_co_u32 v2, s22, v1, s2
	s_sub_i32 s20, 0, s19
	s_cmp_lg_u32 s21, 0
	s_subb_u32 s20, s20, s3
	s_cmp_lg_u32 s22, 0
	v_readfirstlane_b32 s22, v2
	s_subb_u32 s20, s20, 0
	s_delay_alu instid0(SALU_CYCLE_1) | instskip(SKIP_1) | instid1(VALU_DEP_1)
	s_cmp_ge_u32 s20, s3
	s_cselect_b32 s23, -1, 0
	s_cmp_ge_u32 s22, s2
	s_cselect_b32 s22, -1, 0
	s_cmp_eq_u32 s20, s3
	s_cselect_b32 s20, s22, s23
	s_add_u32 s22, s13, 1
	s_addc_u32 s23, s18, 0
	s_add_u32 s24, s13, 2
	s_addc_u32 s25, s18, 0
	s_cmp_lg_u32 s20, 0
	s_cselect_b32 s20, s24, s22
	s_cselect_b32 s22, s25, s23
	s_cmp_lg_u32 s21, 0
	v_readfirstlane_b32 s21, v1
	s_subb_u32 s19, 0, s19
	s_delay_alu instid0(SALU_CYCLE_1) | instskip(SKIP_1) | instid1(VALU_DEP_1)
	s_cmp_ge_u32 s19, s3
	s_cselect_b32 s23, -1, 0
	s_cmp_ge_u32 s21, s2
	s_cselect_b32 s2, -1, 0
	s_cmp_eq_u32 s19, s3
	s_cselect_b32 s2, s2, s23
	s_delay_alu instid0(SALU_CYCLE_1) | instskip(SKIP_2) | instid1(SALU_CYCLE_1)
	s_cmp_lg_u32 s2, 0
	s_cselect_b32 s3, s22, s18
	s_cselect_b32 s2, s20, s13
	s_xor_b64 s[2:3], s[2:3], s[16:17]
	s_delay_alu instid0(SALU_CYCLE_1)
	s_sub_u32 s2, s2, s16
	s_subb_u32 s3, s3, s16
	s_and_not1_b32 vcc_lo, exec_lo, s12
	s_cbranch_vccnz .LBB40_3
.LBB40_2:
	v_cvt_f32_u32_e32 v1, s14
	s_sub_i32 s3, 0, s14
	s_delay_alu instid0(VALU_DEP_1) | instskip(SKIP_2) | instid1(VALU_DEP_1)
	v_rcp_iflag_f32_e32 v1, v1
	s_waitcnt_depctr 0xfff
	v_mul_f32_e32 v1, 0x4f7ffffe, v1
	v_cvt_u32_f32_e32 v1, v1
	s_delay_alu instid0(VALU_DEP_1) | instskip(NEXT) | instid1(VALU_DEP_1)
	v_readfirstlane_b32 s2, v1
	s_mul_i32 s3, s3, s2
	s_delay_alu instid0(SALU_CYCLE_1) | instskip(NEXT) | instid1(SALU_CYCLE_1)
	s_mul_hi_u32 s3, s2, s3
	s_add_i32 s2, s2, s3
	s_delay_alu instid0(SALU_CYCLE_1) | instskip(NEXT) | instid1(SALU_CYCLE_1)
	s_mul_hi_u32 s2, s15, s2
	s_mul_i32 s3, s2, s14
	s_add_i32 s12, s2, 1
	s_sub_i32 s3, s15, s3
	s_delay_alu instid0(SALU_CYCLE_1)
	s_sub_i32 s13, s3, s14
	s_cmp_ge_u32 s3, s14
	s_cselect_b32 s2, s12, s2
	s_cselect_b32 s3, s13, s3
	s_add_i32 s12, s2, 1
	s_cmp_ge_u32 s3, s14
	s_mov_b32 s3, 0
	s_cselect_b32 s2, s12, s2
.LBB40_3:
	s_load_b64 s[12:13], s[0:1], 0x8
	s_mul_i32 s14, s2, s14
	s_delay_alu instid0(SALU_CYCLE_1) | instskip(NEXT) | instid1(SALU_CYCLE_1)
	s_sub_i32 s16, s15, s14
	s_ashr_i32 s17, s16, 31
	s_delay_alu instid0(SALU_CYCLE_1) | instskip(SKIP_1) | instid1(SALU_CYCLE_1)
	s_or_b64 s[18:19], s[16:17], s[10:11]
	s_mov_b32 s18, 0
	s_cmp_lg_u64 s[18:19], 0
	s_cbranch_scc0 .LBB40_37
; %bb.4:
	s_ashr_i32 s20, s11, 31
	s_delay_alu instid0(SALU_CYCLE_1) | instskip(SKIP_2) | instid1(SALU_CYCLE_1)
	s_add_u32 s22, s10, s20
	s_mov_b32 s21, s20
	s_addc_u32 s23, s11, s20
	s_xor_b64 s[22:23], s[22:23], s[20:21]
	s_delay_alu instid0(SALU_CYCLE_1) | instskip(SKIP_3) | instid1(VALU_DEP_1)
	v_cvt_f32_u32_e32 v1, s22
	v_cvt_f32_u32_e32 v2, s23
	s_sub_u32 s25, 0, s22
	s_subb_u32 s26, 0, s23
	v_fmamk_f32 v1, v2, 0x4f800000, v1
	s_delay_alu instid0(VALU_DEP_1) | instskip(SKIP_2) | instid1(VALU_DEP_1)
	v_rcp_f32_e32 v1, v1
	s_waitcnt_depctr 0xfff
	v_mul_f32_e32 v1, 0x5f7ffffc, v1
	v_mul_f32_e32 v2, 0x2f800000, v1
	s_delay_alu instid0(VALU_DEP_1) | instskip(NEXT) | instid1(VALU_DEP_1)
	v_trunc_f32_e32 v2, v2
	v_fmamk_f32 v1, v2, 0xcf800000, v1
	v_cvt_u32_f32_e32 v2, v2
	s_delay_alu instid0(VALU_DEP_2) | instskip(NEXT) | instid1(VALU_DEP_2)
	v_cvt_u32_f32_e32 v1, v1
	v_readfirstlane_b32 s14, v2
	s_delay_alu instid0(VALU_DEP_2) | instskip(NEXT) | instid1(VALU_DEP_2)
	v_readfirstlane_b32 s19, v1
	s_mul_i32 s24, s25, s14
	s_delay_alu instid0(VALU_DEP_1)
	s_mul_hi_u32 s28, s25, s19
	s_mul_i32 s27, s26, s19
	s_add_i32 s24, s28, s24
	s_mul_i32 s29, s25, s19
	s_add_i32 s24, s24, s27
	s_mul_hi_u32 s28, s19, s29
	s_mul_hi_u32 s30, s14, s29
	s_mul_i32 s27, s14, s29
	s_mul_hi_u32 s29, s19, s24
	s_mul_i32 s19, s19, s24
	s_mul_hi_u32 s31, s14, s24
	s_add_u32 s19, s28, s19
	s_addc_u32 s28, 0, s29
	s_add_u32 s19, s19, s27
	s_mul_i32 s24, s14, s24
	s_addc_u32 s19, s28, s30
	s_addc_u32 s27, s31, 0
	s_add_u32 s19, s19, s24
	s_addc_u32 s24, 0, s27
	v_add_co_u32 v1, s19, v1, s19
	s_delay_alu instid0(VALU_DEP_1) | instskip(SKIP_1) | instid1(VALU_DEP_1)
	s_cmp_lg_u32 s19, 0
	s_addc_u32 s14, s14, s24
	v_readfirstlane_b32 s19, v1
	s_mul_i32 s27, s25, s14
	s_mov_b32 s24, s17
	s_delay_alu instid0(VALU_DEP_1)
	s_mul_hi_u32 s28, s25, s19
	s_mul_i32 s26, s26, s19
	s_add_i32 s27, s28, s27
	s_mul_i32 s25, s25, s19
	s_add_i32 s27, s27, s26
	s_mul_hi_u32 s28, s14, s25
	s_mul_i32 s29, s14, s25
	s_mul_hi_u32 s25, s19, s25
	s_mul_hi_u32 s30, s19, s27
	s_mul_i32 s19, s19, s27
	s_mul_hi_u32 s26, s14, s27
	s_add_u32 s19, s25, s19
	s_addc_u32 s25, 0, s30
	s_add_u32 s19, s19, s29
	s_mul_i32 s27, s14, s27
	s_addc_u32 s19, s25, s28
	s_addc_u32 s25, s26, 0
	s_add_u32 s19, s19, s27
	s_addc_u32 s26, 0, s25
	v_add_co_u32 v1, s19, v1, s19
	s_delay_alu instid0(VALU_DEP_1)
	s_cmp_lg_u32 s19, 0
	s_mov_b32 s25, s17
	s_addc_u32 s14, s14, s26
	s_add_u32 s26, s16, s17
	v_readfirstlane_b32 s19, v1
	s_addc_u32 s27, s17, s17
	s_delay_alu instid0(SALU_CYCLE_1) | instskip(NEXT) | instid1(SALU_CYCLE_1)
	s_xor_b64 s[26:27], s[26:27], s[24:25]
	s_mul_i32 s29, s26, s14
	s_delay_alu instid0(VALU_DEP_1)
	s_mul_hi_u32 s30, s26, s19
	s_mul_hi_u32 s28, s26, s14
	s_mul_hi_u32 s33, s27, s19
	s_mul_i32 s19, s27, s19
	s_add_u32 s29, s30, s29
	s_addc_u32 s28, 0, s28
	s_mul_hi_u32 s31, s27, s14
	s_add_u32 s19, s29, s19
	s_mul_i32 s14, s27, s14
	s_addc_u32 s19, s28, s33
	s_addc_u32 s28, s31, 0
	s_add_u32 s14, s19, s14
	s_addc_u32 s19, 0, s28
	s_mul_i32 s31, s22, s14
	s_mul_hi_u32 s28, s22, s14
	s_mul_i32 s30, s22, s19
	v_sub_co_u32 v1, s26, s26, s31
	s_mul_i32 s29, s23, s14
	s_add_i32 s28, s28, s30
	s_delay_alu instid0(SALU_CYCLE_1) | instskip(NEXT) | instid1(VALU_DEP_1)
	s_add_i32 s28, s28, s29
	v_sub_co_u32 v2, s30, v1, s22
	s_sub_i32 s29, s27, s28
	s_cmp_lg_u32 s26, 0
	s_subb_u32 s29, s29, s23
	s_cmp_lg_u32 s30, 0
	v_readfirstlane_b32 s30, v2
	s_subb_u32 s29, s29, 0
	s_delay_alu instid0(SALU_CYCLE_1) | instskip(SKIP_1) | instid1(VALU_DEP_1)
	s_cmp_ge_u32 s29, s23
	s_cselect_b32 s31, -1, 0
	s_cmp_ge_u32 s30, s22
	s_cselect_b32 s30, -1, 0
	s_cmp_eq_u32 s29, s23
	s_cselect_b32 s29, s30, s31
	s_add_u32 s30, s14, 1
	s_addc_u32 s31, s19, 0
	s_add_u32 s33, s14, 2
	s_addc_u32 s34, s19, 0
	s_cmp_lg_u32 s29, 0
	s_cselect_b32 s29, s33, s30
	s_cselect_b32 s30, s34, s31
	s_cmp_lg_u32 s26, 0
	v_readfirstlane_b32 s26, v1
	s_subb_u32 s27, s27, s28
	s_delay_alu instid0(SALU_CYCLE_1) | instskip(SKIP_1) | instid1(VALU_DEP_1)
	s_cmp_ge_u32 s27, s23
	s_cselect_b32 s28, -1, 0
	s_cmp_ge_u32 s26, s22
	s_cselect_b32 s22, -1, 0
	s_cmp_eq_u32 s27, s23
	s_cselect_b32 s22, s22, s28
	s_delay_alu instid0(SALU_CYCLE_1) | instskip(SKIP_3) | instid1(SALU_CYCLE_1)
	s_cmp_lg_u32 s22, 0
	s_cselect_b32 s23, s30, s19
	s_cselect_b32 s22, s29, s14
	s_xor_b64 s[20:21], s[24:25], s[20:21]
	s_xor_b64 s[22:23], s[22:23], s[20:21]
	s_delay_alu instid0(SALU_CYCLE_1)
	s_sub_u32 s20, s22, s20
	s_subb_u32 s21, s23, s21
	s_and_not1_b32 vcc_lo, exec_lo, s18
	s_cbranch_vccnz .LBB40_6
.LBB40_5:
	v_cvt_f32_u32_e32 v1, s10
	s_sub_i32 s18, 0, s10
	s_mov_b32 s21, 0
	s_delay_alu instid0(VALU_DEP_1) | instskip(SKIP_2) | instid1(VALU_DEP_1)
	v_rcp_iflag_f32_e32 v1, v1
	s_waitcnt_depctr 0xfff
	v_mul_f32_e32 v1, 0x4f7ffffe, v1
	v_cvt_u32_f32_e32 v1, v1
	s_delay_alu instid0(VALU_DEP_1) | instskip(NEXT) | instid1(VALU_DEP_1)
	v_readfirstlane_b32 s14, v1
	s_mul_i32 s18, s18, s14
	s_delay_alu instid0(SALU_CYCLE_1) | instskip(NEXT) | instid1(SALU_CYCLE_1)
	s_mul_hi_u32 s18, s14, s18
	s_add_i32 s14, s14, s18
	s_delay_alu instid0(SALU_CYCLE_1) | instskip(NEXT) | instid1(SALU_CYCLE_1)
	s_mul_hi_u32 s14, s16, s14
	s_mul_i32 s18, s14, s10
	s_add_i32 s19, s14, 1
	s_sub_i32 s18, s16, s18
	s_delay_alu instid0(SALU_CYCLE_1)
	s_sub_i32 s20, s18, s10
	s_cmp_ge_u32 s18, s10
	s_cselect_b32 s14, s19, s14
	s_cselect_b32 s18, s20, s18
	s_add_i32 s19, s14, 1
	s_cmp_ge_u32 s18, s10
	s_cselect_b32 s20, s19, s14
.LBB40_6:
	s_delay_alu instid0(SALU_CYCLE_1)
	s_mul_i32 s11, s20, s11
	s_mul_hi_u32 s14, s20, s10
	s_mul_i32 s9, s2, s9
	s_add_i32 s11, s14, s11
	s_mul_i32 s14, s21, s10
	s_mul_i32 s10, s20, s10
	s_add_i32 s11, s11, s14
	s_sub_u32 s14, s16, s10
	s_subb_u32 s16, s17, s11
	s_mul_hi_u32 s17, s2, s8
	s_bfe_i64 s[10:11], s[2:3], 0x200000
	s_add_i32 s3, s17, s9
	s_mul_i32 s9, s11, s8
	s_mul_i32 s2, s2, s8
	s_add_i32 s3, s3, s9
	s_mul_i32 s7, s20, s7
	s_lshl_b64 s[8:9], s[2:3], 1
	s_mul_hi_u32 s17, s20, s6
	s_waitcnt lgkmcnt(0)
	s_add_u32 s10, s12, s8
	s_addc_u32 s11, s13, s9
	s_bfe_i64 s[2:3], s[20:21], 0x200000
	s_add_i32 s2, s17, s7
	s_mul_i32 s3, s3, s6
	s_load_b32 s17, s[0:1], 0x5c
	s_add_i32 s3, s2, s3
	s_mul_i32 s2, s20, s6
	s_mul_i32 s5, s14, s5
	s_lshl_b64 s[6:7], s[2:3], 1
	s_load_b32 s3, s[0:1], 0x48
	s_add_u32 s2, s10, s6
	s_mul_hi_u32 s10, s14, s4
	s_addc_u32 s11, s11, s7
	s_add_i32 s5, s10, s5
	s_mul_i32 s16, s16, s4
	s_mul_i32 s4, s14, s4
	s_add_i32 s5, s5, s16
	s_delay_alu instid0(SALU_CYCLE_1) | instskip(NEXT) | instid1(SALU_CYCLE_1)
	s_lshl_b64 s[4:5], s[4:5], 1
	s_add_u32 s20, s2, s4
	s_addc_u32 s21, s11, s5
	s_and_b32 s10, s20, 31
	s_mov_b32 s11, 0
	s_waitcnt lgkmcnt(0)
	s_and_b32 s22, s17, 0xffff
	s_cmp_lg_u64 s[10:11], 0
	s_cselect_b32 s2, -1, 0
	s_and_b32 s10, s3, 15
	s_delay_alu instid0(SALU_CYCLE_1) | instskip(SKIP_1) | instid1(SALU_CYCLE_1)
	s_cmp_lg_u32 s10, 0
	s_cselect_b32 s10, -1, 0
	s_or_b32 s2, s10, s2
	s_delay_alu instid0(SALU_CYCLE_1)
	s_and_b32 vcc_lo, exec_lo, s2
	s_cbranch_vccz .LBB40_20
; %bb.7:
	s_sub_i32 s2, 0, s20
	v_mov_b32_e32 v4, 0
	s_bfe_u32 s2, s2, 0x40001
	s_mov_b32 s11, exec_lo
	s_min_i32 s10, s2, s3
	s_delay_alu instid0(SALU_CYCLE_1)
	v_cmpx_gt_i32_e64 s10, v0
	s_cbranch_execz .LBB40_11
; %bb.8:
	s_add_u32 s2, s4, s8
	s_addc_u32 s14, s5, s9
	v_dual_mov_b32 v4, 0 :: v_dual_lshlrev_b32 v1, 1, v0
	s_add_u32 s2, s2, s6
	s_addc_u32 s14, s14, s7
	s_add_u32 s2, s12, s2
	s_addc_u32 s14, s13, s14
	v_add_co_u32 v1, s2, s2, v1
	s_delay_alu instid0(VALU_DEP_1)
	v_add_co_ci_u32_e64 v2, null, s14, 0, s2
	v_mov_b32_e32 v3, v0
	s_mov_b32 s14, 0
	s_lshl_b32 s16, s22, 1
.LBB40_9:                               ; =>This Inner Loop Header: Depth=1
	global_load_u16 v5, v[1:2], off
	v_add_co_u32 v1, vcc_lo, v1, s16
	v_add_co_ci_u32_e32 v2, vcc_lo, 0, v2, vcc_lo
	s_waitcnt vmcnt(0)
	v_lshlrev_b32_e32 v5, 16, v5
	s_delay_alu instid0(VALU_DEP_1) | instskip(NEXT) | instid1(VALU_DEP_1)
	v_dual_fmac_f32 v4, v5, v5 :: v_dual_add_nc_u32 v3, s22, v3
	v_cmp_le_i32_e64 s2, s10, v3
	s_delay_alu instid0(VALU_DEP_1) | instskip(NEXT) | instid1(SALU_CYCLE_1)
	s_or_b32 s14, s2, s14
	s_and_not1_b32 exec_lo, exec_lo, s14
	s_cbranch_execnz .LBB40_9
; %bb.10:
	s_or_b32 exec_lo, exec_lo, s14
.LBB40_11:
	s_delay_alu instid0(SALU_CYCLE_1)
	s_or_b32 exec_lo, exec_lo, s11
	s_sub_i32 s14, s3, s10
	s_ashr_i32 s11, s10, 31
	s_ashr_i32 s2, s14, 31
	s_mov_b32 s17, exec_lo
	s_lshr_b32 s2, s2, 28
	s_delay_alu instid0(SALU_CYCLE_1) | instskip(NEXT) | instid1(SALU_CYCLE_1)
	s_add_i32 s2, s14, s2
	s_ashr_i32 s16, s2, 4
	s_delay_alu instid0(SALU_CYCLE_1)
	v_cmpx_gt_i32_e64 s16, v0
	s_cbranch_execz .LBB40_15
; %bb.12:
	s_add_u32 s2, s4, s8
	s_addc_u32 s18, s5, s9
	s_add_u32 s2, s2, s6
	s_addc_u32 s23, s18, s7
	s_lshl_b64 s[18:19], s[10:11], 1
	v_lshlrev_b32_e32 v1, 5, v0
	s_add_u32 s18, s12, s18
	s_addc_u32 s19, s13, s19
	s_add_u32 s2, s18, s2
	s_addc_u32 s18, s19, s23
	v_add_co_u32 v1, s2, s2, v1
	s_delay_alu instid0(VALU_DEP_1)
	v_add_co_ci_u32_e64 v2, null, s18, 0, s2
	v_mov_b32_e32 v3, v0
	s_mov_b32 s18, 0
	s_lshl_b32 s19, s22, 5
.LBB40_13:                              ; =>This Inner Loop Header: Depth=1
	s_clause 0x1
	global_load_b128 v[5:8], v[1:2], off
	global_load_b128 v[9:12], v[1:2], off offset:16
	v_add_co_u32 v1, vcc_lo, v1, s19
	v_add_co_ci_u32_e32 v2, vcc_lo, 0, v2, vcc_lo
	v_add_nc_u32_e32 v3, s22, v3
	s_delay_alu instid0(VALU_DEP_1) | instskip(NEXT) | instid1(VALU_DEP_1)
	v_cmp_le_i32_e64 s2, s16, v3
	s_or_b32 s18, s2, s18
	s_waitcnt vmcnt(1)
	v_lshlrev_b32_e32 v13, 16, v5
	v_and_b32_e32 v5, 0xffff0000, v5
	s_delay_alu instid0(VALU_DEP_2) | instskip(NEXT) | instid1(VALU_DEP_1)
	v_dual_fmac_f32 v4, v13, v13 :: v_dual_lshlrev_b32 v13, 16, v6
	v_dual_fmac_f32 v4, v5, v5 :: v_dual_and_b32 v5, 0xffff0000, v6
	v_lshlrev_b32_e32 v6, 16, v7
	s_delay_alu instid0(VALU_DEP_2) | instskip(NEXT) | instid1(VALU_DEP_1)
	v_fmac_f32_e32 v4, v13, v13
	v_dual_fmac_f32 v4, v5, v5 :: v_dual_and_b32 v5, 0xffff0000, v7
	s_delay_alu instid0(VALU_DEP_1) | instskip(SKIP_1) | instid1(VALU_DEP_2)
	v_fmac_f32_e32 v4, v6, v6
	v_lshlrev_b32_e32 v6, 16, v8
	v_dual_fmac_f32 v4, v5, v5 :: v_dual_and_b32 v5, 0xffff0000, v8
	s_delay_alu instid0(VALU_DEP_1) | instskip(SKIP_2) | instid1(VALU_DEP_2)
	v_fmac_f32_e32 v4, v6, v6
	s_waitcnt vmcnt(0)
	v_lshlrev_b32_e32 v6, 16, v9
	v_fmac_f32_e32 v4, v5, v5
	s_delay_alu instid0(VALU_DEP_1) | instskip(SKIP_1) | instid1(VALU_DEP_2)
	v_dual_fmac_f32 v4, v6, v6 :: v_dual_and_b32 v5, 0xffff0000, v9
	v_lshlrev_b32_e32 v6, 16, v10
	v_dual_fmac_f32 v4, v5, v5 :: v_dual_and_b32 v5, 0xffff0000, v10
	s_delay_alu instid0(VALU_DEP_1) | instskip(SKIP_1) | instid1(VALU_DEP_2)
	v_fmac_f32_e32 v4, v6, v6
	v_lshlrev_b32_e32 v6, 16, v11
	v_dual_fmac_f32 v4, v5, v5 :: v_dual_and_b32 v5, 0xffff0000, v11
	s_delay_alu instid0(VALU_DEP_1) | instskip(SKIP_1) | instid1(VALU_DEP_2)
	v_fmac_f32_e32 v4, v6, v6
	v_lshlrev_b32_e32 v6, 16, v12
	v_dual_fmac_f32 v4, v5, v5 :: v_dual_and_b32 v5, 0xffff0000, v12
	s_delay_alu instid0(VALU_DEP_1) | instskip(NEXT) | instid1(VALU_DEP_1)
	v_fmac_f32_e32 v4, v6, v6
	v_fmac_f32_e32 v4, v5, v5
	s_and_not1_b32 exec_lo, exec_lo, s18
	s_cbranch_execnz .LBB40_13
; %bb.14:
	s_or_b32 exec_lo, exec_lo, s18
.LBB40_15:
	s_delay_alu instid0(SALU_CYCLE_1) | instskip(SKIP_2) | instid1(VALU_DEP_1)
	s_or_b32 exec_lo, exec_lo, s17
	v_lshl_add_u32 v1, s16, 4, v0
	s_mov_b32 s16, exec_lo
	v_cmpx_gt_i32_e64 s14, v1
	s_cbranch_execz .LBB40_19
; %bb.16:
	v_ashrrev_i32_e32 v2, 31, v1
	s_add_u32 s2, s4, s8
	s_addc_u32 s17, s5, s9
	s_add_u32 s2, s2, s6
	s_addc_u32 s17, s17, s7
	s_lshl_b64 s[10:11], s[10:11], 1
	v_lshlrev_b64 v[2:3], 1, v[1:2]
	s_add_u32 s2, s2, s10
	s_addc_u32 s10, s17, s11
	s_add_u32 s2, s12, s2
	s_addc_u32 s10, s13, s10
	s_lshl_b32 s11, s22, 1
	v_add_co_u32 v2, vcc_lo, s2, v2
	v_add_co_ci_u32_e32 v3, vcc_lo, s10, v3, vcc_lo
	s_mov_b32 s10, 0
.LBB40_17:                              ; =>This Inner Loop Header: Depth=1
	global_load_u16 v5, v[2:3], off
	v_add_nc_u32_e32 v1, s22, v1
	v_add_co_u32 v2, vcc_lo, v2, s11
	v_add_co_ci_u32_e32 v3, vcc_lo, 0, v3, vcc_lo
	s_delay_alu instid0(VALU_DEP_3) | instskip(NEXT) | instid1(VALU_DEP_1)
	v_cmp_le_i32_e64 s2, s14, v1
	s_or_b32 s10, s2, s10
	s_waitcnt vmcnt(0)
	v_lshlrev_b32_e32 v5, 16, v5
	s_delay_alu instid0(VALU_DEP_1)
	v_fmac_f32_e32 v4, v5, v5
	s_and_not1_b32 exec_lo, exec_lo, s10
	s_cbranch_execnz .LBB40_17
; %bb.18:
	s_or_b32 exec_lo, exec_lo, s10
.LBB40_19:
	s_delay_alu instid0(SALU_CYCLE_1)
	s_or_b32 exec_lo, exec_lo, s16
	s_branch .LBB40_26
.LBB40_20:
                                        ; implicit-def: $vgpr4
	s_cbranch_execz .LBB40_26
; %bb.21:
	v_mov_b32_e32 v4, 0
	s_ashr_i32 s11, s3, 4
	s_mov_b32 s10, exec_lo
	v_cmpx_gt_i32_e64 s11, v0
	s_cbranch_execz .LBB40_25
; %bb.22:
	s_add_u32 s2, s4, s8
	s_addc_u32 s4, s5, s9
	v_dual_mov_b32 v4, 0 :: v_dual_lshlrev_b32 v1, 5, v0
	s_add_u32 s2, s2, s6
	s_addc_u32 s4, s4, s7
	s_add_u32 s2, s12, s2
	s_addc_u32 s4, s13, s4
	v_add_co_u32 v1, s2, s2, v1
	s_delay_alu instid0(VALU_DEP_1)
	v_add_co_ci_u32_e64 v2, null, s4, 0, s2
	v_mov_b32_e32 v3, v0
	s_mov_b32 s4, 0
	s_lshl_b32 s5, s22, 5
.LBB40_23:                              ; =>This Inner Loop Header: Depth=1
	s_clause 0x1
	global_load_b128 v[5:8], v[1:2], off
	global_load_b128 v[9:12], v[1:2], off offset:16
	v_add_co_u32 v1, vcc_lo, v1, s5
	v_add_co_ci_u32_e32 v2, vcc_lo, 0, v2, vcc_lo
	v_add_nc_u32_e32 v3, s22, v3
	s_delay_alu instid0(VALU_DEP_1) | instskip(NEXT) | instid1(VALU_DEP_1)
	v_cmp_le_i32_e64 s2, s11, v3
	s_or_b32 s4, s2, s4
	s_waitcnt vmcnt(1)
	v_lshlrev_b32_e32 v13, 16, v5
	v_and_b32_e32 v5, 0xffff0000, v5
	s_delay_alu instid0(VALU_DEP_2) | instskip(NEXT) | instid1(VALU_DEP_1)
	v_dual_fmac_f32 v4, v13, v13 :: v_dual_lshlrev_b32 v13, 16, v6
	v_dual_fmac_f32 v4, v5, v5 :: v_dual_and_b32 v5, 0xffff0000, v6
	v_lshlrev_b32_e32 v6, 16, v7
	s_delay_alu instid0(VALU_DEP_2) | instskip(NEXT) | instid1(VALU_DEP_1)
	v_fmac_f32_e32 v4, v13, v13
	v_dual_fmac_f32 v4, v5, v5 :: v_dual_and_b32 v5, 0xffff0000, v7
	s_delay_alu instid0(VALU_DEP_1) | instskip(SKIP_1) | instid1(VALU_DEP_2)
	v_fmac_f32_e32 v4, v6, v6
	v_lshlrev_b32_e32 v6, 16, v8
	v_dual_fmac_f32 v4, v5, v5 :: v_dual_and_b32 v5, 0xffff0000, v8
	s_delay_alu instid0(VALU_DEP_1) | instskip(SKIP_2) | instid1(VALU_DEP_2)
	v_fmac_f32_e32 v4, v6, v6
	s_waitcnt vmcnt(0)
	v_lshlrev_b32_e32 v6, 16, v9
	v_fmac_f32_e32 v4, v5, v5
	s_delay_alu instid0(VALU_DEP_1) | instskip(SKIP_1) | instid1(VALU_DEP_2)
	v_dual_fmac_f32 v4, v6, v6 :: v_dual_and_b32 v5, 0xffff0000, v9
	v_lshlrev_b32_e32 v6, 16, v10
	v_dual_fmac_f32 v4, v5, v5 :: v_dual_and_b32 v5, 0xffff0000, v10
	s_delay_alu instid0(VALU_DEP_1) | instskip(SKIP_1) | instid1(VALU_DEP_2)
	v_fmac_f32_e32 v4, v6, v6
	v_lshlrev_b32_e32 v6, 16, v11
	v_dual_fmac_f32 v4, v5, v5 :: v_dual_and_b32 v5, 0xffff0000, v11
	s_delay_alu instid0(VALU_DEP_1) | instskip(SKIP_1) | instid1(VALU_DEP_2)
	v_fmac_f32_e32 v4, v6, v6
	v_lshlrev_b32_e32 v6, 16, v12
	v_dual_fmac_f32 v4, v5, v5 :: v_dual_and_b32 v5, 0xffff0000, v12
	s_delay_alu instid0(VALU_DEP_1) | instskip(NEXT) | instid1(VALU_DEP_1)
	v_fmac_f32_e32 v4, v6, v6
	v_fmac_f32_e32 v4, v5, v5
	s_and_not1_b32 exec_lo, exec_lo, s4
	s_cbranch_execnz .LBB40_23
; %bb.24:
	s_or_b32 exec_lo, exec_lo, s4
.LBB40_25:
	s_delay_alu instid0(SALU_CYCLE_1)
	s_or_b32 exec_lo, exec_lo, s10
.LBB40_26:
	v_mbcnt_lo_u32_b32 v1, -1, 0
	v_and_b32_e32 v3, 0x3e0, v0
	s_mov_b32 s2, exec_lo
	s_delay_alu instid0(VALU_DEP_2) | instskip(NEXT) | instid1(VALU_DEP_2)
	v_cmp_ne_u32_e32 vcc_lo, 31, v1
	v_sub_nc_u32_e64 v12, s22, v3 clamp
	v_add_nc_u32_e32 v3, 1, v1
	v_add_co_ci_u32_e32 v2, vcc_lo, 0, v1, vcc_lo
	v_cmp_gt_u32_e32 vcc_lo, 30, v1
	s_delay_alu instid0(VALU_DEP_2)
	v_lshlrev_b32_e32 v2, 2, v2
	v_cndmask_b32_e64 v6, 0, 1, vcc_lo
	v_cmp_lt_u32_e32 vcc_lo, v3, v12
	ds_bpermute_b32 v5, v2, v4
	s_waitcnt lgkmcnt(0)
	v_dual_add_f32 v7, v4, v5 :: v_dual_lshlrev_b32 v6, 1, v6
	s_delay_alu instid0(VALU_DEP_1) | instskip(NEXT) | instid1(VALU_DEP_2)
	v_cndmask_b32_e32 v7, v4, v7, vcc_lo
	v_add_lshl_u32 v5, v6, v1, 2
	v_cmp_gt_u32_e32 vcc_lo, 28, v1
	ds_bpermute_b32 v6, v5, v7
	v_cndmask_b32_e64 v4, 0, 1, vcc_lo
	s_delay_alu instid0(VALU_DEP_1) | instskip(SKIP_1) | instid1(VALU_DEP_1)
	v_lshlrev_b32_e32 v8, 2, v4
	v_add_nc_u32_e32 v4, 2, v1
	v_cmp_lt_u32_e32 vcc_lo, v4, v12
	s_waitcnt lgkmcnt(0)
	v_add_f32_e32 v9, v7, v6
	v_add_lshl_u32 v6, v8, v1, 2
	s_delay_alu instid0(VALU_DEP_2) | instskip(SKIP_2) | instid1(VALU_DEP_1)
	v_cndmask_b32_e32 v9, v7, v9, vcc_lo
	v_cmp_gt_u32_e32 vcc_lo, 24, v1
	v_cndmask_b32_e64 v7, 0, 1, vcc_lo
	v_lshlrev_b32_e32 v10, 3, v7
	ds_bpermute_b32 v8, v6, v9
	v_add_nc_u32_e32 v7, 4, v1
	s_delay_alu instid0(VALU_DEP_1) | instskip(SKIP_3) | instid1(VALU_DEP_2)
	v_cmp_lt_u32_e32 vcc_lo, v7, v12
	s_waitcnt lgkmcnt(0)
	v_add_f32_e32 v11, v9, v8
	v_add_lshl_u32 v8, v10, v1, 2
	v_cndmask_b32_e32 v11, v9, v11, vcc_lo
	v_cmp_gt_u32_e32 vcc_lo, 16, v1
	ds_bpermute_b32 v10, v8, v11
	v_cndmask_b32_e64 v9, 0, 1, vcc_lo
	s_delay_alu instid0(VALU_DEP_1) | instskip(SKIP_1) | instid1(VALU_DEP_1)
	v_lshlrev_b32_e32 v13, 4, v9
	v_add_nc_u32_e32 v9, 8, v1
	v_cmp_lt_u32_e32 vcc_lo, v9, v12
	s_waitcnt lgkmcnt(0)
	v_add_f32_e32 v14, v11, v10
	v_add_lshl_u32 v10, v13, v1, 2
	s_delay_alu instid0(VALU_DEP_2)
	v_cndmask_b32_e32 v13, v11, v14, vcc_lo
	v_add_nc_u32_e32 v11, 16, v1
	ds_bpermute_b32 v14, v10, v13
	v_cmp_lt_u32_e32 vcc_lo, v11, v12
	s_waitcnt lgkmcnt(0)
	v_add_f32_e32 v14, v13, v14
	s_delay_alu instid0(VALU_DEP_1)
	v_cndmask_b32_e32 v12, v13, v14, vcc_lo
	v_cmpx_eq_u32_e32 0, v1
	s_cbranch_execz .LBB40_28
; %bb.27:
	v_lshrrev_b32_e32 v13, 3, v0
	s_delay_alu instid0(VALU_DEP_1)
	v_and_b32_e32 v13, 0x7c, v13
	ds_store_b32 v13, v12
.LBB40_28:
	s_or_b32 exec_lo, exec_lo, s2
	s_delay_alu instid0(SALU_CYCLE_1)
	s_mov_b32 s2, exec_lo
	s_waitcnt lgkmcnt(0)
	s_barrier
	buffer_gl0_inv
	v_cmpx_gt_u32_e32 32, v0
	s_cbranch_execz .LBB40_30
; %bb.29:
	v_lshlrev_b32_e32 v1, 2, v1
	s_add_i32 s4, s22, 31
	s_delay_alu instid0(SALU_CYCLE_1) | instskip(NEXT) | instid1(SALU_CYCLE_1)
	s_lshr_b32 s4, s4, 5
	v_cmp_gt_u32_e32 vcc_lo, s4, v3
	ds_load_b32 v1, v1
	s_waitcnt lgkmcnt(0)
	ds_bpermute_b32 v2, v2, v1
	s_waitcnt lgkmcnt(0)
	v_add_f32_e32 v2, v1, v2
	s_delay_alu instid0(VALU_DEP_1) | instskip(SKIP_4) | instid1(VALU_DEP_1)
	v_cndmask_b32_e32 v1, v1, v2, vcc_lo
	v_cmp_gt_u32_e32 vcc_lo, s4, v4
	ds_bpermute_b32 v2, v5, v1
	s_waitcnt lgkmcnt(0)
	v_add_f32_e32 v2, v1, v2
	v_cndmask_b32_e32 v1, v1, v2, vcc_lo
	v_cmp_gt_u32_e32 vcc_lo, s4, v7
	ds_bpermute_b32 v2, v6, v1
	s_waitcnt lgkmcnt(0)
	v_add_f32_e32 v2, v1, v2
	s_delay_alu instid0(VALU_DEP_1) | instskip(SKIP_4) | instid1(VALU_DEP_1)
	v_cndmask_b32_e32 v1, v1, v2, vcc_lo
	v_cmp_gt_u32_e32 vcc_lo, s4, v9
	ds_bpermute_b32 v2, v8, v1
	s_waitcnt lgkmcnt(0)
	v_add_f32_e32 v2, v1, v2
	v_cndmask_b32_e32 v1, v1, v2, vcc_lo
	v_cmp_gt_u32_e32 vcc_lo, s4, v11
	ds_bpermute_b32 v2, v10, v1
	s_waitcnt lgkmcnt(0)
	v_add_f32_e32 v2, v1, v2
	s_delay_alu instid0(VALU_DEP_1)
	v_cndmask_b32_e32 v12, v1, v2, vcc_lo
.LBB40_30:
	s_or_b32 exec_lo, exec_lo, s2
	s_delay_alu instid0(SALU_CYCLE_1)
	s_mov_b32 s2, exec_lo
	v_cmpx_eq_u32_e32 0, v0
	s_cbranch_execz .LBB40_32
; %bb.31:
	v_cvt_f32_i32_e32 v1, s3
	s_load_b32 s4, s[0:1], 0x40
	s_delay_alu instid0(VALU_DEP_1) | instskip(SKIP_1) | instid1(VALU_DEP_2)
	v_div_scale_f32 v2, null, v1, v1, v12
	v_div_scale_f32 v5, vcc_lo, v12, v1, v12
	v_rcp_f32_e32 v3, v2
	s_waitcnt_depctr 0xfff
	v_fma_f32 v4, -v2, v3, 1.0
	s_delay_alu instid0(VALU_DEP_1) | instskip(NEXT) | instid1(VALU_DEP_1)
	v_fmac_f32_e32 v3, v4, v3
	v_mul_f32_e32 v4, v5, v3
	s_delay_alu instid0(VALU_DEP_1) | instskip(NEXT) | instid1(VALU_DEP_1)
	v_fma_f32 v6, -v2, v4, v5
	v_fmac_f32_e32 v4, v6, v3
	s_delay_alu instid0(VALU_DEP_1) | instskip(NEXT) | instid1(VALU_DEP_1)
	v_fma_f32 v2, -v2, v4, v5
	v_div_fmas_f32 v2, v2, v3, v4
	s_delay_alu instid0(VALU_DEP_1) | instskip(SKIP_1) | instid1(VALU_DEP_1)
	v_div_fixup_f32 v1, v2, v1, v12
	s_waitcnt lgkmcnt(0)
	v_add_f32_e32 v1, s4, v1
	s_delay_alu instid0(VALU_DEP_1) | instskip(SKIP_1) | instid1(VALU_DEP_2)
	v_mul_f32_e32 v2, 0x4b800000, v1
	v_cmp_gt_f32_e32 vcc_lo, 0x800000, v1
	v_cndmask_b32_e32 v1, v1, v2, vcc_lo
	s_delay_alu instid0(VALU_DEP_1) | instskip(SKIP_2) | instid1(VALU_DEP_1)
	v_rsq_f32_e32 v1, v1
	s_waitcnt_depctr 0xfff
	v_mul_f32_e32 v2, 0x45800000, v1
	v_dual_cndmask_b32 v1, v1, v2 :: v_dual_mov_b32 v2, 0
	ds_store_b32 v2, v1 offset:128
.LBB40_32:
	s_or_b32 exec_lo, exec_lo, s2
	s_ashr_i32 s2, s3, 31
	s_waitcnt lgkmcnt(0)
	s_lshr_b32 s2, s2, 28
	s_barrier
	s_add_i32 s2, s3, s2
	buffer_gl0_inv
	s_ashr_i32 s23, s2, 4
	s_mov_b32 s2, exec_lo
	v_cmpx_gt_i32_e64 s23, v0
	s_cbranch_execz .LBB40_44
; %bb.33:
	v_cvt_f32_u32_e32 v1, s22
	s_clause 0x1
	s_load_b64 s[4:5], s[0:1], 0x0
	s_load_b64 s[16:17], s[0:1], 0x38
	s_mul_i32 s18, s15, s3
	s_mov_b32 s19, 0
	v_rcp_iflag_f32_e32 v1, v1
	s_lshl_b64 s[0:1], s[18:19], 1
	v_add_nc_u32_e32 v3, s22, v0
	s_delay_alu instid0(VALU_DEP_1) | instskip(SKIP_3) | instid1(VALU_DEP_1)
	v_cmp_gt_i32_e32 vcc_lo, s23, v3
	v_max_i32_e32 v4, s23, v3
	s_waitcnt_depctr 0xfff
	v_mul_f32_e32 v1, 0x4f7ffffe, v1
	v_cvt_u32_f32_e32 v1, v1
	s_waitcnt lgkmcnt(0)
	s_add_u32 s18, s4, s0
	s_addc_u32 s24, s5, s1
	s_sub_i32 s0, 0, s22
	s_cmp_lg_u32 s22, 1
	v_mul_lo_u32 v2, s0, v1
	v_add_co_ci_u32_e64 v3, s0, s22, v0, vcc_lo
	s_delay_alu instid0(VALU_DEP_1) | instskip(NEXT) | instid1(VALU_DEP_3)
	v_sub_nc_u32_e32 v3, v4, v3
	v_mul_hi_u32 v2, v1, v2
	s_delay_alu instid0(VALU_DEP_1) | instskip(NEXT) | instid1(VALU_DEP_1)
	v_add_nc_u32_e32 v1, v1, v2
	v_mul_hi_u32 v1, v3, v1
	s_delay_alu instid0(VALU_DEP_1) | instskip(NEXT) | instid1(VALU_DEP_1)
	v_mul_lo_u32 v2, v1, s22
	v_sub_nc_u32_e32 v2, v3, v2
	v_add_nc_u32_e32 v3, 1, v1
	s_delay_alu instid0(VALU_DEP_2) | instskip(SKIP_1) | instid1(VALU_DEP_1)
	v_subrev_nc_u32_e32 v4, s22, v2
	v_cmp_le_u32_e64 s0, s22, v2
	v_cndmask_b32_e64 v1, v1, v3, s0
	s_delay_alu instid0(VALU_DEP_3) | instskip(NEXT) | instid1(VALU_DEP_2)
	v_cndmask_b32_e64 v2, v2, v4, s0
	v_dual_mov_b32 v3, 0 :: v_dual_add_nc_u32 v4, 1, v1
	s_delay_alu instid0(VALU_DEP_2) | instskip(SKIP_3) | instid1(VALU_DEP_1)
	v_cmp_le_u32_e64 s0, s22, v2
	ds_load_b32 v9, v3 offset:128
	v_cndmask_b32_e64 v1, v1, v4, s0
	s_cselect_b32 s0, -1, 0
	v_add_co_ci_u32_e32 v10, vcc_lo, 1, v1, vcc_lo
	s_delay_alu instid0(VALU_DEP_1) | instskip(SKIP_1) | instid1(SALU_CYCLE_1)
	v_cmp_gt_u32_e32 vcc_lo, 2, v10
	s_or_b32 s0, vcc_lo, s0
	s_and_saveexec_b32 s1, s0
	s_delay_alu instid0(SALU_CYCLE_1)
	s_xor_b32 s0, exec_lo, s1
	s_cbranch_execnz .LBB40_38
; %bb.34:
	s_and_not1_saveexec_b32 s25, s0
	s_cbranch_execnz .LBB40_39
.LBB40_35:
	s_or_b32 exec_lo, exec_lo, s25
	s_delay_alu instid0(SALU_CYCLE_1)
	s_and_b32 exec_lo, exec_lo, s19
	s_cbranch_execnz .LBB40_42
	s_branch .LBB40_44
.LBB40_36:
                                        ; implicit-def: $sgpr2_sgpr3
	s_branch .LBB40_2
.LBB40_37:
                                        ; implicit-def: $sgpr20_sgpr21
	s_branch .LBB40_5
.LBB40_38:
	s_mov_b32 s19, exec_lo
                                        ; implicit-def: $vgpr10
	s_and_not1_saveexec_b32 s25, s0
	s_cbranch_execz .LBB40_35
.LBB40_39:
	v_dual_mov_b32 v2, 0 :: v_dual_and_b32 v11, -2, v10
	v_add_nc_u32_e32 v1, 1, v0
	s_mov_b32 s26, 0
	s_delay_alu instid0(VALU_DEP_2) | instskip(NEXT) | instid1(VALU_DEP_2)
	v_mov_b32_e32 v12, v11
	v_dual_mov_b32 v4, v1 :: v_dual_mov_b32 v3, v0
.LBB40_40:                              ; =>This Inner Loop Header: Depth=1
	s_delay_alu instid0(VALU_DEP_1) | instskip(NEXT) | instid1(VALU_DEP_1)
	v_dual_mov_b32 v1, v3 :: v_dual_add_nc_u32 v12, -2, v12
	v_lshlrev_b64 v[5:6], 5, v[1:2]
	s_delay_alu instid0(VALU_DEP_3) | instskip(NEXT) | instid1(VALU_DEP_3)
	v_dual_mov_b32 v1, v4 :: v_dual_add_nc_u32 v4, 2, v4
	v_cmp_eq_u32_e32 vcc_lo, 0, v12
	s_delay_alu instid0(VALU_DEP_2) | instskip(NEXT) | instid1(VALU_DEP_4)
	v_lshlrev_b64 v[7:8], 5, v[1:2]
	v_add_co_u32 v21, s0, s20, v5
	s_delay_alu instid0(VALU_DEP_1) | instskip(SKIP_1) | instid1(VALU_DEP_1)
	v_add_co_ci_u32_e64 v22, s0, s21, v6, s0
	v_add_co_u32 v25, s0, s16, v5
	v_add_co_ci_u32_e64 v26, s0, s17, v6, s0
	v_add_co_u32 v5, s0, s18, v5
	s_delay_alu instid0(VALU_DEP_1) | instskip(SKIP_1) | instid1(VALU_DEP_1)
	v_add_co_ci_u32_e64 v6, s0, s24, v6, s0
	v_add_co_u32 v37, s0, s20, v7
	v_add_co_ci_u32_e64 v38, s0, s21, v8, s0
	v_add_co_u32 v41, s0, s16, v7
	s_delay_alu instid0(VALU_DEP_1)
	v_add_co_ci_u32_e64 v42, s0, s17, v8, s0
	global_load_b128 v[13:16], v[21:22], off
	global_load_b128 v[17:20], v[25:26], off
	global_load_b128 v[21:24], v[21:22], off offset:16
	global_load_b128 v[25:28], v[25:26], off offset:16
	global_load_b128 v[29:32], v[37:38], off
	global_load_b128 v[33:36], v[41:42], off
	global_load_b128 v[37:40], v[37:38], off offset:16
	global_load_b128 v[41:44], v[41:42], off offset:16
	v_add_co_u32 v7, s0, s18, v7
	s_delay_alu instid0(VALU_DEP_1)
	v_add_co_ci_u32_e64 v8, s0, s24, v8, s0
	s_or_b32 s26, vcc_lo, s26
	s_waitcnt vmcnt(7)
	v_lshlrev_b32_e32 v46, 16, v14
	v_and_b32_e32 v14, 0xffff0000, v14
	s_waitcnt vmcnt(5)
	v_lshlrev_b32_e32 v58, 16, v24
	v_lshlrev_b32_e32 v51, 16, v20
	s_waitcnt vmcnt(1)
	v_lshlrev_b32_e32 v74, 16, v40
	v_lshlrev_b32_e32 v65, 16, v35
	s_waitcnt vmcnt(0)
	v_lshlrev_b32_e32 v73, 16, v43
	v_and_b32_e32 v40, 0xffff0000, v40
	v_and_b32_e32 v24, 0xffff0000, v24
	s_waitcnt lgkmcnt(0)
	v_dual_mul_f32 v74, v9, v74 :: v_dual_and_b32 v43, 0xffff0000, v43
	v_lshlrev_b32_e32 v70, 16, v38
	v_lshlrev_b32_e32 v59, 16, v28
	v_dual_mul_f32 v24, v9, v24 :: v_dual_lshlrev_b32 v53, 16, v25
	v_dual_mul_f32 v40, v9, v40 :: v_dual_lshlrev_b32 v63, 16, v34
	s_delay_alu instid0(VALU_DEP_4)
	v_mul_f32_e32 v70, v9, v70
	v_lshlrev_b32_e32 v62, 16, v30
	v_and_b32_e32 v25, 0xffff0000, v25
	v_lshlrev_b32_e32 v66, 16, v32
	v_lshlrev_b32_e32 v1, 16, v13
	;; [unrolled: 1-line block ×3, first 2 shown]
	v_mul_f32_e32 v62, v9, v62
	v_lshlrev_b32_e32 v56, 16, v23
	v_dual_mul_f32 v66, v9, v66 :: v_dual_and_b32 v23, 0xffff0000, v23
	v_lshlrev_b32_e32 v50, 16, v16
	v_lshlrev_b32_e32 v68, 16, v37
	;; [unrolled: 1-line block ×3, first 2 shown]
	s_delay_alu instid0(VALU_DEP_4) | instskip(NEXT) | instid1(VALU_DEP_4)
	v_mul_f32_e32 v23, v9, v23
	v_dual_mul_f32 v50, v9, v50 :: v_dual_and_b32 v13, 0xffff0000, v13
	v_and_b32_e32 v32, 0xffff0000, v32
	v_mul_f32_e32 v68, v9, v68
	s_delay_alu instid0(VALU_DEP_3) | instskip(SKIP_3) | instid1(VALU_DEP_4)
	v_dual_mul_f32 v13, v9, v13 :: v_dual_and_b32 v30, 0xffff0000, v30
	v_mul_f32_e32 v14, v9, v14
	v_mul_f32_e32 v1, v9, v1
	v_dual_mul_f32 v46, v9, v46 :: v_dual_add_nc_u32 v3, 2, v3
	v_dual_mul_f32 v30, v9, v30 :: v_dual_lshlrev_b32 v57, 16, v27
	v_dual_mul_f32 v32, v9, v32 :: v_dual_and_b32 v27, 0xffff0000, v27
	v_lshlrev_b32_e32 v60, 16, v29
	v_lshlrev_b32_e32 v69, 16, v41
	;; [unrolled: 1-line block ×3, first 2 shown]
	v_and_b32_e32 v38, 0xffff0000, v38
	v_and_b32_e32 v29, 0xffff0000, v29
	v_bfe_u32 v76, v1, 16, 1
	v_bfe_u32 v77, v13, 16, 1
	;; [unrolled: 1-line block ×3, first 2 shown]
	v_mul_f32_e32 v38, v9, v38
	v_dual_mul_f32 v29, v9, v29 :: v_dual_and_b32 v16, 0xffff0000, v16
	s_delay_alu instid0(VALU_DEP_4)
	v_add3_u32 v77, v13, v77, 0x7fff
	v_add3_u32 v76, v1, v76, 0x7fff
	;; [unrolled: 1-line block ×3, first 2 shown]
	v_cmp_o_f32_e64 s1, v46, v46
	v_bfe_u32 v46, v30, 16, 1
	v_bfe_u32 v91, v24, 16, 1
	;; [unrolled: 1-line block ×3, first 2 shown]
	v_and_b32_e32 v77, 0xffff0000, v77
	v_cmp_o_f32_e64 s0, v13, v13
	v_bfe_u32 v13, v62, 16, 1
	v_and_b32_e32 v78, 0xffff0000, v78
	v_and_b32_e32 v76, 0xffff0000, v76
	v_add3_u32 v46, v30, v46, 0x7fff
	v_cmp_o_f32_e64 s15, v1, v1
	v_add3_u32 v91, v24, v91, 0x7fff
	v_add3_u32 v93, v29, v93, 0x7fff
	;; [unrolled: 1-line block ×3, first 2 shown]
	v_cmp_o_f32_e64 s14, v24, v24
	v_cndmask_b32_e64 v24, 0x7fc00000, v76, s15
	v_cmp_o_f32_e64 s15, v29, v29
	v_cndmask_b32_e64 v29, 0x7fc00000, v77, s0
	;; [unrolled: 2-line block ×3, first 2 shown]
	v_and_b32_e32 v46, 0xffff0000, v46
	v_cmp_o_f32_e64 s1, v30, v30
	v_lshlrev_b32_e32 v72, 16, v39
	v_mul_f32_e32 v60, v9, v60
	v_and_b32_e32 v76, 0xffff0000, v93
	v_and_b32_e32 v33, 0xffff0000, v33
	v_cndmask_b32_e64 v46, 0x7fc00000, v46, s1
	v_dual_mul_f32 v72, v9, v72 :: v_dual_and_b32 v39, 0xffff0000, v39
	v_lshlrev_b32_e32 v52, 16, v21
	v_and_b32_e32 v21, 0xffff0000, v21
	v_lshlrev_b32_e32 v48, 16, v15
	v_and_b32_e32 v41, 0xffff0000, v41
	v_lshlrev_b32_e32 v64, 16, v31
	v_lshlrev_b32_e32 v55, 16, v26
	v_mul_f32_e32 v21, v9, v21
	v_dual_mul_f32 v48, v9, v48 :: v_dual_lshlrev_b32 v45, 16, v17
	v_dual_mul_f32 v16, v9, v16 :: v_dual_and_b32 v17, 0xffff0000, v17
	s_delay_alu instid0(VALU_DEP_2) | instskip(SKIP_1) | instid1(VALU_DEP_3)
	v_dual_mul_f32 v24, v24, v45 :: v_dual_and_b32 v31, 0xffff0000, v31
	v_cndmask_b32_e64 v45, 0x7fc00000, v76, s15
	v_dual_mul_f32 v17, v29, v17 :: v_dual_and_b32 v34, 0xffff0000, v34
	v_bfe_u32 v79, v14, 16, 1
	v_bfe_u32 v80, v48, 16, 1
	s_delay_alu instid0(VALU_DEP_3)
	v_dual_mul_f32 v33, v45, v33 :: v_dual_mul_f32 v34, v46, v34
	v_mul_f32_e32 v39, v9, v39
	v_dual_mul_f32 v52, v9, v52 :: v_dual_lshlrev_b32 v47, 16, v18
	v_and_b32_e32 v26, 0xffff0000, v26
	v_and_b32_e32 v37, 0xffff0000, v37
	v_lshlrev_b32_e32 v54, 16, v22
	v_and_b32_e32 v22, 0xffff0000, v22
	v_and_b32_e32 v15, 0xffff0000, v15
	v_bfe_u32 v82, v50, 16, 1
	v_bfe_u32 v83, v16, 16, 1
	;; [unrolled: 1-line block ×3, first 2 shown]
	v_mul_f32_e32 v22, v9, v22
	v_dual_mul_f32 v15, v9, v15 :: v_dual_and_b32 v18, 0xffff0000, v18
	v_bfe_u32 v85, v21, 16, 1
	v_dual_mul_f32 v31, v9, v31 :: v_dual_and_b32 v20, 0xffff0000, v20
	v_mul_f32_e32 v64, v9, v64
	s_delay_alu instid0(VALU_DEP_4)
	v_bfe_u32 v81, v15, 16, 1
	v_mul_f32_e32 v37, v9, v37
	v_add3_u32 v79, v14, v79, 0x7fff
	v_add3_u32 v80, v48, v80, 0x7fff
	;; [unrolled: 1-line block ×7, first 2 shown]
	v_and_b32_e32 v42, 0xffff0000, v42
	v_and_b32_e32 v44, 0xffff0000, v44
	;; [unrolled: 1-line block ×3, first 2 shown]
	v_cmp_o_f32_e64 s2, v14, v14
	v_bfe_u32 v14, v64, 16, 1
	v_and_b32_e32 v80, 0xffff0000, v80
	v_cmp_o_f32_e64 s3, v48, v48
	v_bfe_u32 v48, v31, 16, 1
	v_and_b32_e32 v81, 0xffff0000, v81
	;; [unrolled: 3-line block ×6, first 2 shown]
	v_cmp_o_f32_e64 s8, v21, v21
	v_add3_u32 v14, v64, v14, 0x7fff
	v_add3_u32 v48, v31, v48, 0x7fff
	;; [unrolled: 1-line block ×6, first 2 shown]
	v_cndmask_b32_e64 v30, 0x7fc00000, v79, s2
	v_cmp_o_f32_e64 s2, v64, v64
	v_cndmask_b32_e64 v64, 0x7fc00000, v80, s3
	v_cmp_o_f32_e64 s3, v31, v31
	v_cndmask_b32_e64 v31, 0x7fc00000, v81, s4
	v_cmp_o_f32_e64 s4, v66, v66
	v_cndmask_b32_e64 v66, 0x7fc00000, v82, s5
	v_cmp_o_f32_e64 s5, v32, v32
	v_cndmask_b32_e64 v32, 0x7fc00000, v83, s6
	v_cmp_o_f32_e64 s6, v68, v68
	v_cndmask_b32_e64 v68, 0x7fc00000, v84, s7
	v_cmp_o_f32_e64 s7, v37, v37
	v_cndmask_b32_e64 v37, 0x7fc00000, v85, s8
	v_dual_mul_f32 v54, v9, v54 :: v_dual_lshlrev_b32 v49, 16, v19
	v_bfe_u32 v87, v22, 16, 1
	v_bfe_u32 v89, v23, 16, 1
	s_delay_alu instid0(VALU_DEP_4) | instskip(SKIP_4) | instid1(VALU_DEP_4)
	v_mul_f32_e32 v25, v37, v25
	v_dual_mul_f32 v56, v9, v56 :: v_dual_and_b32 v19, 0xffff0000, v19
	v_bfe_u32 v86, v54, 16, 1
	v_bfe_u32 v92, v60, 16, 1
	v_add3_u32 v87, v22, v87, 0x7fff
	v_dual_mul_f32 v19, v31, v19 :: v_dual_mul_f32 v58, v9, v58
	v_bfe_u32 v88, v56, 16, 1
	v_add3_u32 v86, v54, v86, 0x7fff
	v_cmp_o_f32_e64 s9, v54, v54
	v_bfe_u32 v54, v38, 16, 1
	v_bfe_u32 v90, v58, 16, 1
	v_add3_u32 v88, v56, v88, 0x7fff
	v_add3_u32 v89, v23, v89, 0x7fff
	v_cmp_o_f32_e64 s13, v58, v58
	v_bfe_u32 v21, v70, 16, 1
	v_add3_u32 v90, v58, v90, 0x7fff
	v_bfe_u32 v58, v40, 16, 1
	v_cmp_o_f32_e64 s10, v22, v22
	v_bfe_u32 v22, v72, 16, 1
	v_cmp_o_f32_e64 s11, v56, v56
	;; [unrolled: 2-line block ×3, first 2 shown]
	v_bfe_u32 v23, v74, 16, 1
	v_and_b32_e32 v86, 0xffff0000, v86
	v_and_b32_e32 v87, 0xffff0000, v87
	v_and_b32_e32 v88, 0xffff0000, v88
	v_and_b32_e32 v89, 0xffff0000, v89
	v_and_b32_e32 v90, 0xffff0000, v90
	v_add3_u32 v92, v60, v92, 0x7fff
	v_add3_u32 v54, v38, v54, 0x7fff
	;; [unrolled: 1-line block ×3, first 2 shown]
	v_and_b32_e32 v91, 0xffff0000, v91
	v_add3_u32 v21, v70, v21, 0x7fff
	v_add3_u32 v22, v72, v22, 0x7fff
	;; [unrolled: 1-line block ×4, first 2 shown]
	v_and_b32_e32 v1, 0xffff0000, v92
	v_and_b32_e32 v13, 0xffff0000, v13
	;; [unrolled: 1-line block ×7, first 2 shown]
	v_cmp_o_f32_e64 s8, v70, v70
	v_cndmask_b32_e64 v70, 0x7fc00000, v86, s9
	v_and_b32_e32 v28, 0xffff0000, v28
	v_and_b32_e32 v54, 0xffff0000, v54
	v_cmp_o_f32_e64 s9, v38, v38
	v_cndmask_b32_e64 v38, 0x7fc00000, v87, s10
	v_mul_f32_e32 v37, v70, v55
	v_cmp_o_f32_e64 s10, v72, v72
	v_cndmask_b32_e64 v72, 0x7fc00000, v88, s11
	v_cmp_o_f32_e64 s11, v39, v39
	v_cndmask_b32_e64 v39, 0x7fc00000, v89, s12
	;; [unrolled: 2-line block ×3, first 2 shown]
	v_and_b32_e32 v58, 0xffff0000, v58
	v_cmp_o_f32_e64 s13, v40, v40
	v_cndmask_b32_e64 v40, 0x7fc00000, v91, s14
	v_cmp_o_f32_e64 s14, v60, v60
	v_and_b32_e32 v16, 0xffff0000, v16
	v_and_b32_e32 v21, 0xffff0000, v21
	;; [unrolled: 1-line block ×5, first 2 shown]
	v_dual_mul_f32 v18, v30, v18 :: v_dual_and_b32 v35, 0xffff0000, v35
	v_dual_mul_f32 v30, v64, v49 :: v_dual_lshlrev_b32 v67, 16, v36
	v_cndmask_b32_e64 v1, 0x7fc00000, v1, s14
	v_cndmask_b32_e64 v13, 0x7fc00000, v13, s0
	v_mul_f32_e32 v29, v62, v47
	v_cndmask_b32_e64 v14, 0x7fc00000, v14, s2
	v_cndmask_b32_e64 v47, 0x7fc00000, v48, s3
	;; [unrolled: 1-line block ×3, first 2 shown]
	v_dual_mul_f32 v31, v66, v51 :: v_dual_and_b32 v36, 0xffff0000, v36
	v_cndmask_b32_e64 v48, 0x7fc00000, v50, s5
	s_delay_alu instid0(VALU_DEP_3)
	v_dual_mul_f32 v20, v32, v20 :: v_dual_mul_f32 v15, v15, v67
	v_mul_f32_e32 v32, v68, v53
	v_cndmask_b32_e64 v49, 0x7fc00000, v52, s7
	v_cndmask_b32_e64 v50, 0x7fc00000, v54, s9
	v_mul_f32_e32 v26, v38, v26
	v_mul_f32_e32 v38, v72, v57
	v_cndmask_b32_e64 v52, 0x7fc00000, v58, s13
	v_mul_f32_e32 v28, v40, v28
	v_cndmask_b32_e64 v16, 0x7fc00000, v16, s6
	v_cndmask_b32_e64 v21, 0x7fc00000, v21, s8
	;; [unrolled: 1-line block ×4, first 2 shown]
	v_mul_f32_e32 v27, v39, v27
	v_cndmask_b32_e64 v23, 0x7fc00000, v23, s12
	v_mul_f32_e32 v39, v74, v59
	v_mul_f32_e32 v1, v1, v61
	v_bfe_u32 v40, v24, 16, 1
	v_bfe_u32 v45, v17, 16, 1
	v_mul_f32_e32 v13, v13, v63
	v_bfe_u32 v53, v29, 16, 1
	v_bfe_u32 v46, v18, 16, 1
	v_mul_f32_e32 v14, v14, v65
	v_bfe_u32 v54, v30, 16, 1
	v_mul_f32_e32 v35, v47, v35
	v_bfe_u32 v47, v19, 16, 1
	v_bfe_u32 v55, v31, 16, 1
	v_mul_f32_e32 v36, v48, v36
	;; [unrolled: 5-line block ×3, first 2 shown]
	v_bfe_u32 v52, v28, 16, 1
	v_bfe_u32 v48, v20, 16, 1
	v_mul_f32_e32 v16, v16, v69
	v_mul_f32_e32 v41, v49, v41
	v_bfe_u32 v49, v25, 16, 1
	v_mul_f32_e32 v21, v21, v71
	v_bfe_u32 v57, v37, 16, 1
	v_dual_mul_f32 v22, v22, v73 :: v_dual_mul_f32 v43, v51, v43
	v_bfe_u32 v51, v27, 16, 1
	v_mul_f32_e32 v23, v23, v75
	v_bfe_u32 v59, v39, 16, 1
	v_bfe_u32 v60, v1, 16, 1
	v_add3_u32 v40, v24, v40, 0x7fff
	v_bfe_u32 v61, v33, 16, 1
	v_add3_u32 v45, v17, v45, 0x7fff
	;; [unrolled: 2-line block ×8, first 2 shown]
	v_add3_u32 v50, v26, v50, 0x7fff
	v_add3_u32 v58, v38, v58, 0x7fff
	;; [unrolled: 1-line block ×4, first 2 shown]
	v_bfe_u32 v68, v16, 16, 1
	v_bfe_u32 v69, v41, 16, 1
	v_add3_u32 v49, v25, v49, 0x7fff
	v_bfe_u32 v70, v21, 16, 1
	v_add3_u32 v57, v37, v57, 0x7fff
	v_bfe_u32 v71, v42, 16, 1
	v_bfe_u32 v72, v22, 16, 1
	;; [unrolled: 1-line block ×3, first 2 shown]
	v_add3_u32 v51, v27, v51, 0x7fff
	v_bfe_u32 v74, v23, 16, 1
	v_add3_u32 v59, v39, v59, 0x7fff
	v_bfe_u32 v75, v44, 16, 1
	v_add3_u32 v60, v1, v60, 0x7fff
	v_lshrrev_b32_e32 v40, 16, v40
	v_add3_u32 v61, v33, v61, 0x7fff
	v_lshrrev_b32_e32 v45, 16, v45
	v_cmp_o_f32_e64 s0, v17, v17
	v_add3_u32 v17, v13, v62, 0x7fff
	v_lshrrev_b32_e32 v53, 16, v53
	v_cmp_o_f32_e64 s1, v29, v29
	;; [unrolled: 3-line block ×7, first 2 shown]
	v_lshrrev_b32_e32 v50, 16, v50
	v_cmp_o_f32_e64 s10, v26, v26
	v_lshrrev_b32_e32 v58, 16, v58
	v_cmp_o_f32_e64 s11, v38, v38
	;; [unrolled: 2-line block ×3, first 2 shown]
	v_cmp_o_f32_e64 s15, v24, v24
	v_lshrrev_b32_e32 v48, 16, v48
	v_cmp_o_f32_e64 s6, v20, v20
	v_add3_u32 v20, v16, v68, 0x7fff
	v_add3_u32 v32, v41, v69, 0x7fff
	v_lshrrev_b32_e32 v49, 16, v49
	v_cmp_o_f32_e64 s8, v25, v25
	v_add3_u32 v25, v21, v70, 0x7fff
	v_lshrrev_b32_e32 v57, 16, v57
	v_cmp_o_f32_e64 s9, v37, v37
	v_add3_u32 v37, v42, v71, 0x7fff
	v_add3_u32 v26, v22, v72, 0x7fff
	;; [unrolled: 1-line block ×3, first 2 shown]
	v_lshrrev_b32_e32 v51, 16, v51
	v_cmp_o_f32_e64 s12, v27, v27
	v_add3_u32 v27, v23, v74, 0x7fff
	v_lshrrev_b32_e32 v59, 16, v59
	v_cmp_o_f32_e64 s13, v39, v39
	v_add3_u32 v39, v44, v75, 0x7fff
	v_lshrrev_b32_e32 v24, 16, v60
	v_cndmask_b32_e64 v28, 0x7fc0, v40, s15
	v_lshrrev_b32_e32 v40, 16, v61
	v_cmp_o_f32_e64 s15, v33, v33
	v_cndmask_b32_e64 v33, 0x7fc0, v45, s0
	v_lshrrev_b32_e32 v17, 16, v17
	v_cmp_o_f32_e64 s0, v13, v13
	;; [unrolled: 3-line block ×7, first 2 shown]
	v_cndmask_b32_e64 v36, 0x7fc0, v56, s7
	v_cmp_o_f32_e64 s7, v41, v41
	v_cndmask_b32_e64 v41, 0x7fc0, v50, s10
	v_cmp_o_f32_e64 s10, v22, v22
	;; [unrolled: 2-line block ×4, first 2 shown]
	v_cndmask_b32_e64 v31, 0x7fc0, v48, s6
	v_lshrrev_b32_e32 v20, 16, v20
	v_cmp_o_f32_e64 s6, v16, v16
	v_lshrrev_b32_e32 v16, 16, v32
	v_cndmask_b32_e64 v32, 0x7fc0, v49, s8
	v_lshrrev_b32_e32 v25, 16, v25
	v_cmp_o_f32_e64 s8, v21, v21
	v_cndmask_b32_e64 v21, 0x7fc0, v57, s9
	v_lshrrev_b32_e32 v37, 16, v37
	v_cmp_o_f32_e64 s9, v42, v42
	v_lshrrev_b32_e32 v26, 16, v26
	v_lshrrev_b32_e32 v38, 16, v38
	v_cndmask_b32_e64 v42, 0x7fc0, v51, s12
	v_lshrrev_b32_e32 v27, 16, v27
	v_cmp_o_f32_e64 s12, v23, v23
	v_cndmask_b32_e64 v23, 0x7fc0, v59, s13
	v_lshrrev_b32_e32 v39, 16, v39
	v_cmp_o_f32_e64 s13, v44, v44
	v_cndmask_b32_e64 v1, 0x7fc0, v24, s14
	v_cndmask_b32_e64 v24, 0x7fc0, v40, s15
	v_cndmask_b32_e64 v40, 0x7fc0, v17, s0
	v_cndmask_b32_e64 v44, 0x7fc0, v13, s1
	v_cndmask_b32_e64 v46, 0x7fc0, v18, s2
	v_cndmask_b32_e64 v47, 0x7fc0, v14, s3
	v_cndmask_b32_e64 v48, 0x7fc0, v19, s4
	v_cndmask_b32_e64 v49, 0x7fc0, v15, s5
	v_cndmask_b32_e64 v50, 0x7fc0, v20, s6
	v_cndmask_b32_e64 v51, 0x7fc0, v16, s7
	v_cndmask_b32_e64 v52, 0x7fc0, v25, s8
	v_cndmask_b32_e64 v37, 0x7fc0, v37, s9
	v_cndmask_b32_e64 v53, 0x7fc0, v26, s10
	v_cndmask_b32_e64 v38, 0x7fc0, v38, s11
	v_cndmask_b32_e64 v54, 0x7fc0, v27, s12
	v_cndmask_b32_e64 v39, 0x7fc0, v39, s13
	v_perm_b32 v13, v33, v28, 0x5040100
	v_perm_b32 v14, v29, v45, 0x5040100
	;; [unrolled: 1-line block ×16, first 2 shown]
	s_clause 0x3
	global_store_b128 v[5:6], v[13:16], off
	global_store_b128 v[5:6], v[17:20], off offset:16
	global_store_b128 v[7:8], v[21:24], off
	global_store_b128 v[7:8], v[25:28], off offset:16
	s_and_not1_b32 exec_lo, exec_lo, s26
	s_cbranch_execnz .LBB40_40
; %bb.41:
	s_or_b32 exec_lo, exec_lo, s26
	v_cmp_ne_u32_e32 vcc_lo, v10, v11
	v_add_nc_u32_e32 v0, v0, v11
	s_and_not1_b32 s0, s19, exec_lo
	s_and_b32 s1, vcc_lo, exec_lo
	s_delay_alu instid0(SALU_CYCLE_1) | instskip(SKIP_1) | instid1(SALU_CYCLE_1)
	s_or_b32 s19, s0, s1
	s_or_b32 exec_lo, exec_lo, s25
	s_and_b32 exec_lo, exec_lo, s19
	s_cbranch_execz .LBB40_44
.LBB40_42:
	v_mov_b32_e32 v1, 0
	s_waitcnt lgkmcnt(0)
	v_mov_b32_e32 v3, v9
	s_mov_b32 s19, 0
	s_lshl_b32 s25, s22, 5
	v_lshlrev_b64 v[1:2], 5, v[0:1]
.LBB40_43:                              ; =>This Inner Loop Header: Depth=1
	s_delay_alu instid0(VALU_DEP_1) | instskip(NEXT) | instid1(VALU_DEP_2)
	v_add_co_u32 v14, vcc_lo, s20, v1
	v_add_co_ci_u32_e32 v15, vcc_lo, s21, v2, vcc_lo
	v_add_co_u32 v18, vcc_lo, s16, v1
	v_add_co_ci_u32_e32 v19, vcc_lo, s17, v2, vcc_lo
	v_add_co_u32 v22, vcc_lo, s18, v1
	global_load_b128 v[4:7], v[14:15], off
	global_load_b128 v[10:13], v[18:19], off
	global_load_b128 v[14:17], v[14:15], off offset:16
	global_load_b128 v[18:21], v[18:19], off offset:16
	v_add_co_ci_u32_e32 v23, vcc_lo, s24, v2, vcc_lo
	s_add_u32 s18, s18, s25
	s_addc_u32 s24, s24, 0
	s_add_u32 s20, s20, s25
	s_addc_u32 s21, s21, 0
	;; [unrolled: 2-line block ×3, first 2 shown]
	s_waitcnt vmcnt(3)
	v_lshlrev_b32_e32 v25, 16, v5
	v_lshlrev_b32_e32 v8, 16, v4
	s_waitcnt vmcnt(1)
	v_lshlrev_b32_e32 v35, 16, v16
	v_and_b32_e32 v16, 0xffff0000, v16
	v_lshlrev_b32_e32 v27, 16, v6
	s_waitcnt vmcnt(0)
	v_and_b32_e32 v36, 0xffff0000, v20
	v_lshlrev_b32_e32 v20, 16, v20
	v_and_b32_e32 v38, 0xffff0000, v21
	v_mul_f32_e32 v16, v3, v16
	v_dual_mul_f32 v27, v9, v27 :: v_dual_and_b32 v4, 0xffff0000, v4
	v_lshlrev_b32_e32 v37, 16, v17
	v_and_b32_e32 v17, 0xffff0000, v17
	s_delay_alu instid0(VALU_DEP_3) | instskip(SKIP_4) | instid1(VALU_DEP_4)
	v_dual_mul_f32 v4, v3, v4 :: v_dual_lshlrev_b32 v21, 16, v21
	v_mul_f32_e32 v25, v9, v25
	v_dual_mul_f32 v8, v9, v8 :: v_dual_and_b32 v5, 0xffff0000, v5
	v_lshlrev_b32_e32 v33, 16, v15
	v_and_b32_e32 v26, 0xffff0000, v11
	v_bfe_u32 v41, v25, 16, 1
	v_cmp_o_f32_e64 s2, v25, v25
	v_bfe_u32 v39, v8, 16, 1
	v_cmp_o_f32_e64 s0, v8, v8
	v_dual_mul_f32 v5, v3, v5 :: v_dual_add_nc_u32 v0, s22, v0
	v_add3_u32 v41, v25, v41, 0x7fff
	s_delay_alu instid0(VALU_DEP_4)
	v_add3_u32 v39, v8, v39, 0x7fff
	v_bfe_u32 v43, v27, 16, 1
	v_cmp_o_f32_e64 s4, v27, v27
	v_bfe_u32 v42, v5, 16, 1
	v_and_b32_e32 v8, 0xffff0000, v41
	v_mul_f32_e32 v17, v3, v17
	v_and_b32_e32 v39, 0xffff0000, v39
	v_add3_u32 v43, v27, v43, 0x7fff
	v_add3_u32 v42, v5, v42, 0x7fff
	v_cndmask_b32_e64 v8, 0x7fc00000, v8, s2
	v_lshlrev_b32_e32 v31, 16, v14
	v_and_b32_e32 v14, 0xffff0000, v14
	v_lshlrev_b32_e32 v29, 16, v7
	v_bfe_u32 v54, v17, 16, 1
	s_delay_alu instid0(VALU_DEP_4) | instskip(NEXT) | instid1(VALU_DEP_3)
	v_dual_mul_f32 v31, v9, v31 :: v_dual_and_b32 v6, 0xffff0000, v6
	v_dual_mul_f32 v14, v3, v14 :: v_dual_mul_f32 v29, v9, v29
	s_delay_alu instid0(VALU_DEP_3)
	v_add3_u32 v54, v17, v54, 0x7fff
	v_cmp_o_f32_e64 s13, v17, v17
	v_cndmask_b32_e64 v17, 0x7fc00000, v39, s0
	v_and_b32_e32 v7, 0xffff0000, v7
	v_and_b32_e32 v24, 0xffff0000, v10
	v_lshlrev_b32_e32 v10, 16, v10
	v_dual_mul_f32 v6, v3, v6 :: v_dual_lshlrev_b32 v11, 16, v11
	v_bfe_u32 v45, v29, 16, 1
	v_cmp_o_f32_e64 s6, v29, v29
	v_cmp_o_f32_e64 s1, v5, v5
	v_and_b32_e32 v5, 0xffff0000, v43
	v_bfe_u32 v44, v6, 16, 1
	v_add3_u32 v45, v29, v45, 0x7fff
	v_cmp_o_f32_e64 s3, v6, v6
	v_mul_f32_e32 v10, v17, v10
	v_mul_f32_e32 v35, v9, v35
	v_add3_u32 v44, v6, v44, 0x7fff
	v_dual_mul_f32 v7, v3, v7 :: v_dual_and_b32 v6, 0xffff0000, v45
	v_cndmask_b32_e64 v5, 0x7fc00000, v5, s4
	s_delay_alu instid0(VALU_DEP_4) | instskip(NEXT) | instid1(VALU_DEP_4)
	v_bfe_u32 v51, v35, 16, 1
	v_and_b32_e32 v25, 0xffff0000, v44
	s_delay_alu instid0(VALU_DEP_4)
	v_cndmask_b32_e64 v6, 0x7fc00000, v6, s6
	v_and_b32_e32 v15, 0xffff0000, v15
	v_and_b32_e32 v28, 0xffff0000, v12
	v_lshlrev_b32_e32 v12, 16, v12
	v_add3_u32 v51, v35, v51, 0x7fff
	v_cmp_o_f32_e64 s12, v35, v35
	v_mul_f32_e32 v15, v3, v15
	v_and_b32_e32 v35, 0xffff0000, v54
	v_cndmask_b32_e64 v25, 0x7fc00000, v25, s3
	v_bfe_u32 v40, v4, 16, 1
	v_bfe_u32 v46, v7, 16, 1
	;; [unrolled: 1-line block ×3, first 2 shown]
	v_cmp_o_f32_e64 s9, v15, v15
	v_cndmask_b32_e64 v35, 0x7fc00000, v35, s13
	v_bfe_u32 v47, v31, 16, 1
	v_bfe_u32 v48, v14, 16, 1
	v_add3_u32 v50, v15, v50, 0x7fff
	v_and_b32_e32 v15, 0xffff0000, v51
	v_mul_f32_e32 v5, v5, v12
	v_mul_f32_e32 v12, v25, v28
	;; [unrolled: 1-line block ×3, first 2 shown]
	v_bfe_u32 v52, v16, 16, 1
	v_cndmask_b32_e64 v15, 0x7fc00000, v15, s12
	v_add3_u32 v40, v4, v40, 0x7fff
	v_add3_u32 v46, v7, v46, 0x7fff
	v_bfe_u32 v49, v33, 16, 1
	v_add3_u32 v48, v14, v48, 0x7fff
	v_mul_f32_e32 v15, v15, v20
	v_mul_f32_e32 v20, v35, v38
	v_dual_mul_f32 v37, v9, v37 :: v_dual_and_b32 v32, 0xffff0000, v18
	v_lshlrev_b32_e32 v18, 16, v18
	v_add3_u32 v47, v31, v47, 0x7fff
	v_add3_u32 v49, v33, v49, 0x7fff
	;; [unrolled: 1-line block ×3, first 2 shown]
	v_bfe_u32 v53, v37, 16, 1
	v_and_b32_e32 v40, 0xffff0000, v40
	v_and_b32_e32 v41, 0xffff0000, v42
	v_and_b32_e32 v27, 0xffff0000, v46
	v_cmp_o_f32_e64 s5, v7, v7
	v_add3_u32 v53, v37, v53, 0x7fff
	v_cmp_o_f32_e64 s15, v4, v4
	v_and_b32_e32 v7, 0xffff0000, v47
	v_and_b32_e32 v29, 0xffff0000, v48
	v_cmp_o_f32_e64 s7, v14, v14
	v_cmp_o_f32_e64 s8, v31, v31
	v_and_b32_e32 v14, 0xffff0000, v49
	v_and_b32_e32 v31, 0xffff0000, v50
	v_cmp_o_f32_e64 s10, v33, v33
	v_and_b32_e32 v33, 0xffff0000, v52
	v_cmp_o_f32_e64 s11, v16, v16
	v_and_b32_e32 v16, 0xffff0000, v53
	v_cmp_o_f32_e64 s14, v37, v37
	v_cndmask_b32_e64 v4, 0x7fc00000, v40, s15
	v_cndmask_b32_e64 v37, 0x7fc00000, v41, s1
	v_and_b32_e32 v30, 0xffff0000, v13
	v_lshlrev_b32_e32 v13, 16, v13
	v_cndmask_b32_e64 v27, 0x7fc00000, v27, s5
	v_mul_f32_e32 v4, v4, v24
	v_cndmask_b32_e64 v29, 0x7fc00000, v29, s7
	v_cndmask_b32_e64 v7, 0x7fc00000, v7, s8
	;; [unrolled: 1-line block ×6, first 2 shown]
	v_dual_mul_f32 v8, v8, v11 :: v_dual_mul_f32 v11, v37, v26
	v_and_b32_e32 v34, 0xffff0000, v19
	v_dual_mul_f32 v6, v6, v13 :: v_dual_mul_f32 v13, v27, v30
	v_lshlrev_b32_e32 v19, 16, v19
	v_mul_f32_e32 v7, v7, v18
	s_delay_alu instid0(VALU_DEP_4) | instskip(SKIP_1) | instid1(VALU_DEP_4)
	v_dual_mul_f32 v18, v31, v34 :: v_dual_mul_f32 v17, v29, v32
	v_mul_f32_e32 v16, v16, v21
	v_dual_mul_f32 v14, v14, v19 :: v_dual_mul_f32 v19, v33, v36
	v_bfe_u32 v21, v4, 16, 1
	v_bfe_u32 v24, v10, 16, 1
	;; [unrolled: 1-line block ×16, first 2 shown]
	v_add3_u32 v24, v10, v24, 0x7fff
	v_add3_u32 v21, v4, v21, 0x7fff
	;; [unrolled: 1-line block ×16, first 2 shown]
	v_lshrrev_b32_e32 v21, 16, v21
	v_lshrrev_b32_e32 v24, 16, v24
	v_cmp_o_f32_e64 s0, v10, v10
	v_lshrrev_b32_e32 v10, 16, v25
	v_lshrrev_b32_e32 v25, 16, v26
	v_cmp_o_f32_e64 s1, v11, v11
	v_cmp_o_f32_e64 s2, v8, v8
	v_lshrrev_b32_e32 v8, 16, v27
	v_lshrrev_b32_e32 v11, 16, v28
	v_cmp_o_f32_e64 s3, v12, v12
	v_cmp_o_f32_e64 s4, v5, v5
	v_lshrrev_b32_e32 v5, 16, v29
	v_lshrrev_b32_e32 v12, 16, v30
	v_cmp_o_f32_e64 s5, v13, v13
	v_cmp_o_f32_e64 s6, v6, v6
	v_cmp_o_f32_e64 s15, v4, v4
	v_lshrrev_b32_e32 v6, 16, v31
	v_lshrrev_b32_e32 v13, 16, v32
	v_cmp_o_f32_e64 s7, v17, v17
	v_cmp_o_f32_e64 s8, v7, v7
	v_lshrrev_b32_e32 v7, 16, v33
	v_lshrrev_b32_e32 v17, 16, v34
	;; [unrolled: 4-line block ×4, first 2 shown]
	v_cmp_o_f32_e64 s13, v20, v20
	v_cmp_o_f32_e64 s14, v16, v16
	v_cndmask_b32_e64 v4, 0x7fc0, v21, s15
	v_cndmask_b32_e64 v16, 0x7fc0, v24, s0
	;; [unrolled: 1-line block ×16, first 2 shown]
	v_cmp_le_i32_e32 vcc_lo, s23, v0
	v_perm_b32 v7, v5, v12, 0x5040100
	v_perm_b32 v6, v8, v11, 0x5040100
	;; [unrolled: 1-line block ×8, first 2 shown]
	s_or_b32 s19, vcc_lo, s19
	s_clause 0x1
	global_store_b128 v[22:23], v[4:7], off
	global_store_b128 v[22:23], v[10:13], off offset:16
	s_and_not1_b32 exec_lo, exec_lo, s19
	s_cbranch_execnz .LBB40_43
.LBB40_44:
	s_nop 0
	s_sendmsg sendmsg(MSG_DEALLOC_VGPRS)
	s_endpgm
	.section	.rodata,"a",@progbits
	.p2align	6, 0x0
	.amdhsa_kernel _ZN4vllm15rms_norm_kernelIN3c108BFloat16ELi16ELi4EEEvPT_PKS3_lllllS6_fii
		.amdhsa_group_segment_fixed_size 132
		.amdhsa_private_segment_fixed_size 0
		.amdhsa_kernarg_size 336
		.amdhsa_user_sgpr_count 15
		.amdhsa_user_sgpr_dispatch_ptr 0
		.amdhsa_user_sgpr_queue_ptr 0
		.amdhsa_user_sgpr_kernarg_segment_ptr 1
		.amdhsa_user_sgpr_dispatch_id 0
		.amdhsa_user_sgpr_private_segment_size 0
		.amdhsa_wavefront_size32 1
		.amdhsa_uses_dynamic_stack 0
		.amdhsa_enable_private_segment 0
		.amdhsa_system_sgpr_workgroup_id_x 1
		.amdhsa_system_sgpr_workgroup_id_y 0
		.amdhsa_system_sgpr_workgroup_id_z 0
		.amdhsa_system_sgpr_workgroup_info 0
		.amdhsa_system_vgpr_workitem_id 0
		.amdhsa_next_free_vgpr 94
		.amdhsa_next_free_sgpr 35
		.amdhsa_reserve_vcc 1
		.amdhsa_float_round_mode_32 0
		.amdhsa_float_round_mode_16_64 0
		.amdhsa_float_denorm_mode_32 3
		.amdhsa_float_denorm_mode_16_64 3
		.amdhsa_dx10_clamp 1
		.amdhsa_ieee_mode 1
		.amdhsa_fp16_overflow 0
		.amdhsa_workgroup_processor_mode 1
		.amdhsa_memory_ordered 1
		.amdhsa_forward_progress 0
		.amdhsa_shared_vgpr_count 0
		.amdhsa_exception_fp_ieee_invalid_op 0
		.amdhsa_exception_fp_denorm_src 0
		.amdhsa_exception_fp_ieee_div_zero 0
		.amdhsa_exception_fp_ieee_overflow 0
		.amdhsa_exception_fp_ieee_underflow 0
		.amdhsa_exception_fp_ieee_inexact 0
		.amdhsa_exception_int_div_zero 0
	.end_amdhsa_kernel
	.section	.text._ZN4vllm15rms_norm_kernelIN3c108BFloat16ELi16ELi4EEEvPT_PKS3_lllllS6_fii,"axG",@progbits,_ZN4vllm15rms_norm_kernelIN3c108BFloat16ELi16ELi4EEEvPT_PKS3_lllllS6_fii,comdat
.Lfunc_end40:
	.size	_ZN4vllm15rms_norm_kernelIN3c108BFloat16ELi16ELi4EEEvPT_PKS3_lllllS6_fii, .Lfunc_end40-_ZN4vllm15rms_norm_kernelIN3c108BFloat16ELi16ELi4EEEvPT_PKS3_lllllS6_fii
                                        ; -- End function
	.section	.AMDGPU.csdata,"",@progbits
; Kernel info:
; codeLenInByte = 10280
; NumSgprs: 37
; NumVgprs: 94
; ScratchSize: 0
; MemoryBound: 0
; FloatMode: 240
; IeeeMode: 1
; LDSByteSize: 132 bytes/workgroup (compile time only)
; SGPRBlocks: 4
; VGPRBlocks: 11
; NumSGPRsForWavesPerEU: 37
; NumVGPRsForWavesPerEU: 94
; Occupancy: 16
; WaveLimiterHint : 0
; COMPUTE_PGM_RSRC2:SCRATCH_EN: 0
; COMPUTE_PGM_RSRC2:USER_SGPR: 15
; COMPUTE_PGM_RSRC2:TRAP_HANDLER: 0
; COMPUTE_PGM_RSRC2:TGID_X_EN: 1
; COMPUTE_PGM_RSRC2:TGID_Y_EN: 0
; COMPUTE_PGM_RSRC2:TGID_Z_EN: 0
; COMPUTE_PGM_RSRC2:TIDIG_COMP_CNT: 0
	.section	.text._ZN4vllm15rms_norm_kernelIN3c108BFloat16ELi8ELi4EEEvPT_PKS3_lllllS6_fii,"axG",@progbits,_ZN4vllm15rms_norm_kernelIN3c108BFloat16ELi8ELi4EEEvPT_PKS3_lllllS6_fii,comdat
	.protected	_ZN4vllm15rms_norm_kernelIN3c108BFloat16ELi8ELi4EEEvPT_PKS3_lllllS6_fii ; -- Begin function _ZN4vllm15rms_norm_kernelIN3c108BFloat16ELi8ELi4EEEvPT_PKS3_lllllS6_fii
	.globl	_ZN4vllm15rms_norm_kernelIN3c108BFloat16ELi8ELi4EEEvPT_PKS3_lllllS6_fii
	.p2align	8
	.type	_ZN4vllm15rms_norm_kernelIN3c108BFloat16ELi8ELi4EEEvPT_PKS3_lllllS6_fii,@function
_ZN4vllm15rms_norm_kernelIN3c108BFloat16ELi8ELi4EEEvPT_PKS3_lllllS6_fii: ; @_ZN4vllm15rms_norm_kernelIN3c108BFloat16ELi8ELi4EEEvPT_PKS3_lllllS6_fii
; %bb.0:
	s_clause 0x1
	s_load_b256 s[4:11], s[0:1], 0x10
	s_load_b64 s[2:3], s[0:1], 0x30
	s_waitcnt lgkmcnt(0)
	s_mul_i32 s12, s2, s11
	s_mul_hi_u32 s13, s2, s10
	s_mul_i32 s3, s3, s10
	s_add_i32 s13, s13, s12
	s_mov_b32 s12, 0
	s_add_i32 s13, s13, s3
	s_mul_i32 s14, s2, s10
	s_cmp_lg_u64 s[12:13], 0
	s_cbranch_scc0 .LBB41_36
; %bb.1:
	s_ashr_i32 s16, s13, 31
	s_delay_alu instid0(SALU_CYCLE_1) | instskip(SKIP_2) | instid1(SALU_CYCLE_1)
	s_add_u32 s2, s14, s16
	s_mov_b32 s17, s16
	s_addc_u32 s3, s13, s16
	s_xor_b64 s[2:3], s[2:3], s[16:17]
	s_delay_alu instid0(SALU_CYCLE_1) | instskip(SKIP_3) | instid1(VALU_DEP_1)
	v_cvt_f32_u32_e32 v1, s2
	v_cvt_f32_u32_e32 v2, s3
	s_sub_u32 s19, 0, s2
	s_subb_u32 s20, 0, s3
	v_fmamk_f32 v1, v2, 0x4f800000, v1
	s_delay_alu instid0(VALU_DEP_1) | instskip(SKIP_2) | instid1(VALU_DEP_1)
	v_rcp_f32_e32 v1, v1
	s_waitcnt_depctr 0xfff
	v_mul_f32_e32 v1, 0x5f7ffffc, v1
	v_mul_f32_e32 v2, 0x2f800000, v1
	s_delay_alu instid0(VALU_DEP_1) | instskip(NEXT) | instid1(VALU_DEP_1)
	v_trunc_f32_e32 v2, v2
	v_fmamk_f32 v1, v2, 0xcf800000, v1
	v_cvt_u32_f32_e32 v2, v2
	s_delay_alu instid0(VALU_DEP_2) | instskip(NEXT) | instid1(VALU_DEP_2)
	v_cvt_u32_f32_e32 v1, v1
	v_readfirstlane_b32 s13, v2
	s_delay_alu instid0(VALU_DEP_2) | instskip(NEXT) | instid1(VALU_DEP_2)
	v_readfirstlane_b32 s18, v1
	s_mul_i32 s21, s19, s13
	s_delay_alu instid0(VALU_DEP_1)
	s_mul_hi_u32 s23, s19, s18
	s_mul_i32 s22, s20, s18
	s_add_i32 s21, s23, s21
	s_mul_i32 s24, s19, s18
	s_add_i32 s21, s21, s22
	s_mul_hi_u32 s23, s18, s24
	s_mul_hi_u32 s25, s13, s24
	s_mul_i32 s22, s13, s24
	s_mul_hi_u32 s24, s18, s21
	s_mul_i32 s18, s18, s21
	s_mul_hi_u32 s26, s13, s21
	s_add_u32 s18, s23, s18
	s_addc_u32 s23, 0, s24
	s_add_u32 s18, s18, s22
	s_mul_i32 s21, s13, s21
	s_addc_u32 s18, s23, s25
	s_addc_u32 s22, s26, 0
	s_add_u32 s18, s18, s21
	s_addc_u32 s21, 0, s22
	v_add_co_u32 v1, s18, v1, s18
	s_delay_alu instid0(VALU_DEP_1) | instskip(SKIP_1) | instid1(VALU_DEP_1)
	s_cmp_lg_u32 s18, 0
	s_addc_u32 s13, s13, s21
	v_readfirstlane_b32 s18, v1
	s_mul_i32 s21, s19, s13
	s_delay_alu instid0(VALU_DEP_1)
	s_mul_hi_u32 s22, s19, s18
	s_mul_i32 s20, s20, s18
	s_add_i32 s21, s22, s21
	s_mul_i32 s19, s19, s18
	s_add_i32 s21, s21, s20
	s_mul_hi_u32 s22, s13, s19
	s_mul_i32 s23, s13, s19
	s_mul_hi_u32 s19, s18, s19
	s_mul_hi_u32 s24, s18, s21
	s_mul_i32 s18, s18, s21
	s_mul_hi_u32 s20, s13, s21
	s_add_u32 s18, s19, s18
	s_addc_u32 s19, 0, s24
	s_add_u32 s18, s18, s23
	s_mul_i32 s21, s13, s21
	s_addc_u32 s18, s19, s22
	s_addc_u32 s19, s20, 0
	s_add_u32 s18, s18, s21
	s_addc_u32 s19, 0, s19
	v_add_co_u32 v1, s18, v1, s18
	s_delay_alu instid0(VALU_DEP_1) | instskip(SKIP_1) | instid1(VALU_DEP_1)
	s_cmp_lg_u32 s18, 0
	s_addc_u32 s13, s13, s19
	v_readfirstlane_b32 s18, v1
	s_mul_i32 s19, s15, s13
	s_mul_hi_u32 s13, s15, s13
	s_delay_alu instid0(VALU_DEP_1) | instskip(NEXT) | instid1(SALU_CYCLE_1)
	s_mul_hi_u32 s18, s15, s18
	s_add_u32 s18, s18, s19
	s_addc_u32 s13, 0, s13
	s_add_u32 s18, s18, 0
	s_addc_u32 s13, s13, 0
	s_addc_u32 s18, 0, 0
	s_add_u32 s13, s13, 0
	s_addc_u32 s18, 0, s18
	s_mul_hi_u32 s19, s2, s13
	s_mul_i32 s21, s2, s18
	s_mul_i32 s22, s2, s13
	s_add_i32 s19, s19, s21
	v_sub_co_u32 v1, s21, s15, s22
	s_mul_i32 s20, s3, s13
	s_delay_alu instid0(SALU_CYCLE_1) | instskip(NEXT) | instid1(VALU_DEP_1)
	s_add_i32 s19, s19, s20
	v_sub_co_u32 v2, s22, v1, s2
	s_sub_i32 s20, 0, s19
	s_cmp_lg_u32 s21, 0
	s_subb_u32 s20, s20, s3
	s_cmp_lg_u32 s22, 0
	v_readfirstlane_b32 s22, v2
	s_subb_u32 s20, s20, 0
	s_delay_alu instid0(SALU_CYCLE_1) | instskip(SKIP_1) | instid1(VALU_DEP_1)
	s_cmp_ge_u32 s20, s3
	s_cselect_b32 s23, -1, 0
	s_cmp_ge_u32 s22, s2
	s_cselect_b32 s22, -1, 0
	s_cmp_eq_u32 s20, s3
	s_cselect_b32 s20, s22, s23
	s_add_u32 s22, s13, 1
	s_addc_u32 s23, s18, 0
	s_add_u32 s24, s13, 2
	s_addc_u32 s25, s18, 0
	s_cmp_lg_u32 s20, 0
	s_cselect_b32 s20, s24, s22
	s_cselect_b32 s22, s25, s23
	s_cmp_lg_u32 s21, 0
	v_readfirstlane_b32 s21, v1
	s_subb_u32 s19, 0, s19
	s_delay_alu instid0(SALU_CYCLE_1) | instskip(SKIP_1) | instid1(VALU_DEP_1)
	s_cmp_ge_u32 s19, s3
	s_cselect_b32 s23, -1, 0
	s_cmp_ge_u32 s21, s2
	s_cselect_b32 s2, -1, 0
	s_cmp_eq_u32 s19, s3
	s_cselect_b32 s2, s2, s23
	s_delay_alu instid0(SALU_CYCLE_1) | instskip(SKIP_2) | instid1(SALU_CYCLE_1)
	s_cmp_lg_u32 s2, 0
	s_cselect_b32 s3, s22, s18
	s_cselect_b32 s2, s20, s13
	s_xor_b64 s[2:3], s[2:3], s[16:17]
	s_delay_alu instid0(SALU_CYCLE_1)
	s_sub_u32 s2, s2, s16
	s_subb_u32 s3, s3, s16
	s_and_not1_b32 vcc_lo, exec_lo, s12
	s_cbranch_vccnz .LBB41_3
.LBB41_2:
	v_cvt_f32_u32_e32 v1, s14
	s_sub_i32 s3, 0, s14
	s_delay_alu instid0(VALU_DEP_1) | instskip(SKIP_2) | instid1(VALU_DEP_1)
	v_rcp_iflag_f32_e32 v1, v1
	s_waitcnt_depctr 0xfff
	v_mul_f32_e32 v1, 0x4f7ffffe, v1
	v_cvt_u32_f32_e32 v1, v1
	s_delay_alu instid0(VALU_DEP_1) | instskip(NEXT) | instid1(VALU_DEP_1)
	v_readfirstlane_b32 s2, v1
	s_mul_i32 s3, s3, s2
	s_delay_alu instid0(SALU_CYCLE_1) | instskip(NEXT) | instid1(SALU_CYCLE_1)
	s_mul_hi_u32 s3, s2, s3
	s_add_i32 s2, s2, s3
	s_delay_alu instid0(SALU_CYCLE_1) | instskip(NEXT) | instid1(SALU_CYCLE_1)
	s_mul_hi_u32 s2, s15, s2
	s_mul_i32 s3, s2, s14
	s_add_i32 s12, s2, 1
	s_sub_i32 s3, s15, s3
	s_delay_alu instid0(SALU_CYCLE_1)
	s_sub_i32 s13, s3, s14
	s_cmp_ge_u32 s3, s14
	s_cselect_b32 s2, s12, s2
	s_cselect_b32 s3, s13, s3
	s_add_i32 s12, s2, 1
	s_cmp_ge_u32 s3, s14
	s_mov_b32 s3, 0
	s_cselect_b32 s2, s12, s2
.LBB41_3:
	s_load_b64 s[12:13], s[0:1], 0x8
	s_mul_i32 s14, s2, s14
	s_delay_alu instid0(SALU_CYCLE_1) | instskip(NEXT) | instid1(SALU_CYCLE_1)
	s_sub_i32 s16, s15, s14
	s_ashr_i32 s17, s16, 31
	s_delay_alu instid0(SALU_CYCLE_1) | instskip(SKIP_1) | instid1(SALU_CYCLE_1)
	s_or_b64 s[18:19], s[16:17], s[10:11]
	s_mov_b32 s18, 0
	s_cmp_lg_u64 s[18:19], 0
	s_cbranch_scc0 .LBB41_37
; %bb.4:
	s_ashr_i32 s20, s11, 31
	s_delay_alu instid0(SALU_CYCLE_1) | instskip(SKIP_2) | instid1(SALU_CYCLE_1)
	s_add_u32 s22, s10, s20
	s_mov_b32 s21, s20
	s_addc_u32 s23, s11, s20
	s_xor_b64 s[22:23], s[22:23], s[20:21]
	s_delay_alu instid0(SALU_CYCLE_1) | instskip(SKIP_3) | instid1(VALU_DEP_1)
	v_cvt_f32_u32_e32 v1, s22
	v_cvt_f32_u32_e32 v2, s23
	s_sub_u32 s25, 0, s22
	s_subb_u32 s26, 0, s23
	v_fmamk_f32 v1, v2, 0x4f800000, v1
	s_delay_alu instid0(VALU_DEP_1) | instskip(SKIP_2) | instid1(VALU_DEP_1)
	v_rcp_f32_e32 v1, v1
	s_waitcnt_depctr 0xfff
	v_mul_f32_e32 v1, 0x5f7ffffc, v1
	v_mul_f32_e32 v2, 0x2f800000, v1
	s_delay_alu instid0(VALU_DEP_1) | instskip(NEXT) | instid1(VALU_DEP_1)
	v_trunc_f32_e32 v2, v2
	v_fmamk_f32 v1, v2, 0xcf800000, v1
	v_cvt_u32_f32_e32 v2, v2
	s_delay_alu instid0(VALU_DEP_2) | instskip(NEXT) | instid1(VALU_DEP_2)
	v_cvt_u32_f32_e32 v1, v1
	v_readfirstlane_b32 s14, v2
	s_delay_alu instid0(VALU_DEP_2) | instskip(NEXT) | instid1(VALU_DEP_2)
	v_readfirstlane_b32 s19, v1
	s_mul_i32 s24, s25, s14
	s_delay_alu instid0(VALU_DEP_1)
	s_mul_hi_u32 s28, s25, s19
	s_mul_i32 s27, s26, s19
	s_add_i32 s24, s28, s24
	s_mul_i32 s29, s25, s19
	s_add_i32 s24, s24, s27
	s_mul_hi_u32 s28, s19, s29
	s_mul_hi_u32 s30, s14, s29
	s_mul_i32 s27, s14, s29
	s_mul_hi_u32 s29, s19, s24
	s_mul_i32 s19, s19, s24
	s_mul_hi_u32 s31, s14, s24
	s_add_u32 s19, s28, s19
	s_addc_u32 s28, 0, s29
	s_add_u32 s19, s19, s27
	s_mul_i32 s24, s14, s24
	s_addc_u32 s19, s28, s30
	s_addc_u32 s27, s31, 0
	s_add_u32 s19, s19, s24
	s_addc_u32 s24, 0, s27
	v_add_co_u32 v1, s19, v1, s19
	s_delay_alu instid0(VALU_DEP_1) | instskip(SKIP_1) | instid1(VALU_DEP_1)
	s_cmp_lg_u32 s19, 0
	s_addc_u32 s14, s14, s24
	v_readfirstlane_b32 s19, v1
	s_mul_i32 s27, s25, s14
	s_mov_b32 s24, s17
	s_delay_alu instid0(VALU_DEP_1)
	s_mul_hi_u32 s28, s25, s19
	s_mul_i32 s26, s26, s19
	s_add_i32 s27, s28, s27
	s_mul_i32 s25, s25, s19
	s_add_i32 s27, s27, s26
	s_mul_hi_u32 s28, s14, s25
	s_mul_i32 s29, s14, s25
	s_mul_hi_u32 s25, s19, s25
	s_mul_hi_u32 s30, s19, s27
	s_mul_i32 s19, s19, s27
	s_mul_hi_u32 s26, s14, s27
	s_add_u32 s19, s25, s19
	s_addc_u32 s25, 0, s30
	s_add_u32 s19, s19, s29
	s_mul_i32 s27, s14, s27
	s_addc_u32 s19, s25, s28
	s_addc_u32 s25, s26, 0
	s_add_u32 s19, s19, s27
	s_addc_u32 s26, 0, s25
	v_add_co_u32 v1, s19, v1, s19
	s_delay_alu instid0(VALU_DEP_1)
	s_cmp_lg_u32 s19, 0
	s_mov_b32 s25, s17
	s_addc_u32 s14, s14, s26
	s_add_u32 s26, s16, s17
	v_readfirstlane_b32 s19, v1
	s_addc_u32 s27, s17, s17
	s_delay_alu instid0(SALU_CYCLE_1) | instskip(NEXT) | instid1(SALU_CYCLE_1)
	s_xor_b64 s[26:27], s[26:27], s[24:25]
	s_mul_i32 s29, s26, s14
	s_delay_alu instid0(VALU_DEP_1)
	s_mul_hi_u32 s30, s26, s19
	s_mul_hi_u32 s28, s26, s14
	;; [unrolled: 1-line block ×3, first 2 shown]
	s_mul_i32 s19, s27, s19
	s_add_u32 s29, s30, s29
	s_addc_u32 s28, 0, s28
	s_mul_hi_u32 s31, s27, s14
	s_add_u32 s19, s29, s19
	s_mul_i32 s14, s27, s14
	s_addc_u32 s19, s28, s33
	s_addc_u32 s28, s31, 0
	s_add_u32 s14, s19, s14
	s_addc_u32 s19, 0, s28
	s_mul_i32 s31, s22, s14
	s_mul_hi_u32 s28, s22, s14
	s_mul_i32 s30, s22, s19
	v_sub_co_u32 v1, s26, s26, s31
	s_mul_i32 s29, s23, s14
	s_add_i32 s28, s28, s30
	s_delay_alu instid0(SALU_CYCLE_1) | instskip(NEXT) | instid1(VALU_DEP_1)
	s_add_i32 s28, s28, s29
	v_sub_co_u32 v2, s30, v1, s22
	s_sub_i32 s29, s27, s28
	s_cmp_lg_u32 s26, 0
	s_subb_u32 s29, s29, s23
	s_cmp_lg_u32 s30, 0
	v_readfirstlane_b32 s30, v2
	s_subb_u32 s29, s29, 0
	s_delay_alu instid0(SALU_CYCLE_1) | instskip(SKIP_1) | instid1(VALU_DEP_1)
	s_cmp_ge_u32 s29, s23
	s_cselect_b32 s31, -1, 0
	s_cmp_ge_u32 s30, s22
	s_cselect_b32 s30, -1, 0
	s_cmp_eq_u32 s29, s23
	s_cselect_b32 s29, s30, s31
	s_add_u32 s30, s14, 1
	s_addc_u32 s31, s19, 0
	s_add_u32 s33, s14, 2
	s_addc_u32 s34, s19, 0
	s_cmp_lg_u32 s29, 0
	s_cselect_b32 s29, s33, s30
	s_cselect_b32 s30, s34, s31
	s_cmp_lg_u32 s26, 0
	v_readfirstlane_b32 s26, v1
	s_subb_u32 s27, s27, s28
	s_delay_alu instid0(SALU_CYCLE_1) | instskip(SKIP_1) | instid1(VALU_DEP_1)
	s_cmp_ge_u32 s27, s23
	s_cselect_b32 s28, -1, 0
	s_cmp_ge_u32 s26, s22
	s_cselect_b32 s22, -1, 0
	s_cmp_eq_u32 s27, s23
	s_cselect_b32 s22, s22, s28
	s_delay_alu instid0(SALU_CYCLE_1) | instskip(SKIP_3) | instid1(SALU_CYCLE_1)
	s_cmp_lg_u32 s22, 0
	s_cselect_b32 s23, s30, s19
	s_cselect_b32 s22, s29, s14
	s_xor_b64 s[20:21], s[24:25], s[20:21]
	s_xor_b64 s[22:23], s[22:23], s[20:21]
	s_delay_alu instid0(SALU_CYCLE_1)
	s_sub_u32 s20, s22, s20
	s_subb_u32 s21, s23, s21
	s_and_not1_b32 vcc_lo, exec_lo, s18
	s_cbranch_vccnz .LBB41_6
.LBB41_5:
	v_cvt_f32_u32_e32 v1, s10
	s_sub_i32 s18, 0, s10
	s_mov_b32 s21, 0
	s_delay_alu instid0(VALU_DEP_1) | instskip(SKIP_2) | instid1(VALU_DEP_1)
	v_rcp_iflag_f32_e32 v1, v1
	s_waitcnt_depctr 0xfff
	v_mul_f32_e32 v1, 0x4f7ffffe, v1
	v_cvt_u32_f32_e32 v1, v1
	s_delay_alu instid0(VALU_DEP_1) | instskip(NEXT) | instid1(VALU_DEP_1)
	v_readfirstlane_b32 s14, v1
	s_mul_i32 s18, s18, s14
	s_delay_alu instid0(SALU_CYCLE_1) | instskip(NEXT) | instid1(SALU_CYCLE_1)
	s_mul_hi_u32 s18, s14, s18
	s_add_i32 s14, s14, s18
	s_delay_alu instid0(SALU_CYCLE_1) | instskip(NEXT) | instid1(SALU_CYCLE_1)
	s_mul_hi_u32 s14, s16, s14
	s_mul_i32 s18, s14, s10
	s_add_i32 s19, s14, 1
	s_sub_i32 s18, s16, s18
	s_delay_alu instid0(SALU_CYCLE_1)
	s_sub_i32 s20, s18, s10
	s_cmp_ge_u32 s18, s10
	s_cselect_b32 s14, s19, s14
	s_cselect_b32 s18, s20, s18
	s_add_i32 s19, s14, 1
	s_cmp_ge_u32 s18, s10
	s_cselect_b32 s20, s19, s14
.LBB41_6:
	s_delay_alu instid0(SALU_CYCLE_1)
	s_mul_i32 s11, s20, s11
	s_mul_hi_u32 s14, s20, s10
	s_mul_i32 s9, s2, s9
	s_add_i32 s11, s14, s11
	s_mul_i32 s14, s21, s10
	s_mul_i32 s10, s20, s10
	s_add_i32 s11, s11, s14
	s_sub_u32 s14, s16, s10
	s_subb_u32 s16, s17, s11
	s_mul_hi_u32 s17, s2, s8
	s_bfe_i64 s[10:11], s[2:3], 0x200000
	s_add_i32 s3, s17, s9
	s_mul_i32 s9, s11, s8
	s_mul_i32 s2, s2, s8
	s_add_i32 s3, s3, s9
	s_mul_i32 s7, s20, s7
	s_lshl_b64 s[8:9], s[2:3], 1
	s_mul_hi_u32 s17, s20, s6
	s_waitcnt lgkmcnt(0)
	s_add_u32 s10, s12, s8
	s_addc_u32 s11, s13, s9
	s_bfe_i64 s[2:3], s[20:21], 0x200000
	s_add_i32 s2, s17, s7
	s_mul_i32 s3, s3, s6
	s_load_b32 s17, s[0:1], 0x5c
	s_add_i32 s3, s2, s3
	s_mul_i32 s2, s20, s6
	s_mul_i32 s5, s14, s5
	s_lshl_b64 s[6:7], s[2:3], 1
	s_load_b32 s3, s[0:1], 0x48
	s_add_u32 s2, s10, s6
	s_mul_hi_u32 s10, s14, s4
	s_addc_u32 s11, s11, s7
	s_add_i32 s5, s10, s5
	s_mul_i32 s16, s16, s4
	s_mul_i32 s4, s14, s4
	s_add_i32 s5, s5, s16
	s_delay_alu instid0(SALU_CYCLE_1) | instskip(NEXT) | instid1(SALU_CYCLE_1)
	s_lshl_b64 s[4:5], s[4:5], 1
	s_add_u32 s14, s2, s4
	s_addc_u32 s16, s11, s5
	s_and_b32 s10, s14, 15
	s_mov_b32 s11, 0
	s_waitcnt lgkmcnt(0)
	s_and_b32 s17, s17, 0xffff
	s_cmp_lg_u64 s[10:11], 0
	s_cselect_b32 s2, -1, 0
	s_and_b32 s10, s3, 7
	s_delay_alu instid0(SALU_CYCLE_1) | instskip(SKIP_1) | instid1(SALU_CYCLE_1)
	s_cmp_lg_u32 s10, 0
	s_cselect_b32 s10, -1, 0
	s_or_b32 s2, s10, s2
	s_delay_alu instid0(SALU_CYCLE_1)
	s_and_b32 vcc_lo, exec_lo, s2
	s_cbranch_vccz .LBB41_20
; %bb.7:
	s_sub_i32 s2, 0, s14
	v_mov_b32_e32 v4, 0
	s_bfe_u32 s2, s2, 0x30001
	s_mov_b32 s11, exec_lo
	s_min_i32 s10, s2, s3
	s_delay_alu instid0(SALU_CYCLE_1)
	v_cmpx_gt_i32_e64 s10, v0
	s_cbranch_execz .LBB41_11
; %bb.8:
	s_add_u32 s2, s4, s8
	s_addc_u32 s18, s5, s9
	v_dual_mov_b32 v4, 0 :: v_dual_lshlrev_b32 v1, 1, v0
	s_add_u32 s2, s2, s6
	s_addc_u32 s18, s18, s7
	s_add_u32 s2, s12, s2
	s_addc_u32 s18, s13, s18
	v_add_co_u32 v1, s2, s2, v1
	s_delay_alu instid0(VALU_DEP_1)
	v_add_co_ci_u32_e64 v2, null, s18, 0, s2
	v_mov_b32_e32 v3, v0
	s_mov_b32 s18, 0
	s_lshl_b32 s19, s17, 1
.LBB41_9:                               ; =>This Inner Loop Header: Depth=1
	global_load_u16 v5, v[1:2], off
	v_add_co_u32 v1, vcc_lo, v1, s19
	v_add_co_ci_u32_e32 v2, vcc_lo, 0, v2, vcc_lo
	s_waitcnt vmcnt(0)
	v_lshlrev_b32_e32 v5, 16, v5
	s_delay_alu instid0(VALU_DEP_1) | instskip(NEXT) | instid1(VALU_DEP_1)
	v_dual_fmac_f32 v4, v5, v5 :: v_dual_add_nc_u32 v3, s17, v3
	v_cmp_le_i32_e64 s2, s10, v3
	s_delay_alu instid0(VALU_DEP_1) | instskip(NEXT) | instid1(SALU_CYCLE_1)
	s_or_b32 s18, s2, s18
	s_and_not1_b32 exec_lo, exec_lo, s18
	s_cbranch_execnz .LBB41_9
; %bb.10:
	s_or_b32 exec_lo, exec_lo, s18
.LBB41_11:
	s_delay_alu instid0(SALU_CYCLE_1)
	s_or_b32 exec_lo, exec_lo, s11
	s_sub_i32 s18, s3, s10
	s_ashr_i32 s11, s10, 31
	s_ashr_i32 s2, s18, 31
	s_mov_b32 s20, exec_lo
	s_lshr_b32 s2, s2, 29
	s_delay_alu instid0(SALU_CYCLE_1) | instskip(NEXT) | instid1(SALU_CYCLE_1)
	s_add_i32 s2, s18, s2
	s_ashr_i32 s19, s2, 3
	s_delay_alu instid0(SALU_CYCLE_1)
	v_cmpx_gt_i32_e64 s19, v0
	s_cbranch_execz .LBB41_15
; %bb.12:
	s_add_u32 s2, s4, s8
	s_addc_u32 s21, s5, s9
	s_add_u32 s2, s2, s6
	s_addc_u32 s21, s21, s7
	s_lshl_b64 s[22:23], s[10:11], 1
	v_lshlrev_b32_e32 v1, 4, v0
	s_add_u32 s22, s12, s22
	s_addc_u32 s23, s13, s23
	s_add_u32 s2, s22, s2
	s_addc_u32 s21, s23, s21
	v_add_co_u32 v1, s2, s2, v1
	s_delay_alu instid0(VALU_DEP_1)
	v_add_co_ci_u32_e64 v2, null, s21, 0, s2
	v_mov_b32_e32 v3, v0
	s_mov_b32 s21, 0
	s_lshl_b32 s22, s17, 4
	.p2align	6
.LBB41_13:                              ; =>This Inner Loop Header: Depth=1
	global_load_b128 v[5:8], v[1:2], off
	v_add_co_u32 v1, vcc_lo, v1, s22
	v_add_co_ci_u32_e32 v2, vcc_lo, 0, v2, vcc_lo
	v_add_nc_u32_e32 v3, s17, v3
	s_delay_alu instid0(VALU_DEP_1) | instskip(NEXT) | instid1(VALU_DEP_1)
	v_cmp_le_i32_e64 s2, s19, v3
	s_or_b32 s21, s2, s21
	s_waitcnt vmcnt(0)
	v_lshlrev_b32_e32 v9, 16, v5
	v_and_b32_e32 v5, 0xffff0000, v5
	s_delay_alu instid0(VALU_DEP_2) | instskip(NEXT) | instid1(VALU_DEP_1)
	v_dual_fmac_f32 v4, v9, v9 :: v_dual_lshlrev_b32 v9, 16, v6
	v_dual_fmac_f32 v4, v5, v5 :: v_dual_and_b32 v5, 0xffff0000, v6
	v_lshlrev_b32_e32 v6, 16, v7
	s_delay_alu instid0(VALU_DEP_2) | instskip(NEXT) | instid1(VALU_DEP_1)
	v_fmac_f32_e32 v4, v9, v9
	v_dual_fmac_f32 v4, v5, v5 :: v_dual_and_b32 v5, 0xffff0000, v7
	s_delay_alu instid0(VALU_DEP_1) | instskip(SKIP_1) | instid1(VALU_DEP_2)
	v_fmac_f32_e32 v4, v6, v6
	v_lshlrev_b32_e32 v6, 16, v8
	v_dual_fmac_f32 v4, v5, v5 :: v_dual_and_b32 v5, 0xffff0000, v8
	s_delay_alu instid0(VALU_DEP_1) | instskip(NEXT) | instid1(VALU_DEP_1)
	v_fmac_f32_e32 v4, v6, v6
	v_fmac_f32_e32 v4, v5, v5
	s_and_not1_b32 exec_lo, exec_lo, s21
	s_cbranch_execnz .LBB41_13
; %bb.14:
	s_or_b32 exec_lo, exec_lo, s21
.LBB41_15:
	s_delay_alu instid0(SALU_CYCLE_1) | instskip(SKIP_2) | instid1(VALU_DEP_1)
	s_or_b32 exec_lo, exec_lo, s20
	v_lshl_add_u32 v1, s19, 3, v0
	s_mov_b32 s19, exec_lo
	v_cmpx_gt_i32_e64 s18, v1
	s_cbranch_execz .LBB41_19
; %bb.16:
	v_ashrrev_i32_e32 v2, 31, v1
	s_add_u32 s2, s4, s8
	s_addc_u32 s20, s5, s9
	s_add_u32 s2, s2, s6
	s_addc_u32 s20, s20, s7
	s_lshl_b64 s[10:11], s[10:11], 1
	v_lshlrev_b64 v[2:3], 1, v[1:2]
	s_add_u32 s2, s2, s10
	s_addc_u32 s10, s20, s11
	s_add_u32 s2, s12, s2
	s_addc_u32 s10, s13, s10
	s_lshl_b32 s11, s17, 1
	v_add_co_u32 v2, vcc_lo, s2, v2
	v_add_co_ci_u32_e32 v3, vcc_lo, s10, v3, vcc_lo
	s_mov_b32 s10, 0
.LBB41_17:                              ; =>This Inner Loop Header: Depth=1
	global_load_u16 v5, v[2:3], off
	v_add_nc_u32_e32 v1, s17, v1
	v_add_co_u32 v2, vcc_lo, v2, s11
	v_add_co_ci_u32_e32 v3, vcc_lo, 0, v3, vcc_lo
	s_delay_alu instid0(VALU_DEP_3) | instskip(NEXT) | instid1(VALU_DEP_1)
	v_cmp_le_i32_e64 s2, s18, v1
	s_or_b32 s10, s2, s10
	s_waitcnt vmcnt(0)
	v_lshlrev_b32_e32 v5, 16, v5
	s_delay_alu instid0(VALU_DEP_1)
	v_fmac_f32_e32 v4, v5, v5
	s_and_not1_b32 exec_lo, exec_lo, s10
	s_cbranch_execnz .LBB41_17
; %bb.18:
	s_or_b32 exec_lo, exec_lo, s10
.LBB41_19:
	s_delay_alu instid0(SALU_CYCLE_1)
	s_or_b32 exec_lo, exec_lo, s19
	s_branch .LBB41_26
.LBB41_20:
                                        ; implicit-def: $vgpr4
	s_cbranch_execz .LBB41_26
; %bb.21:
	v_mov_b32_e32 v4, 0
	s_ashr_i32 s11, s3, 3
	s_mov_b32 s10, exec_lo
	v_cmpx_gt_i32_e64 s11, v0
	s_cbranch_execz .LBB41_25
; %bb.22:
	s_add_u32 s2, s4, s8
	s_addc_u32 s4, s5, s9
	v_dual_mov_b32 v4, 0 :: v_dual_lshlrev_b32 v1, 4, v0
	s_add_u32 s2, s2, s6
	s_addc_u32 s4, s4, s7
	s_add_u32 s2, s12, s2
	s_addc_u32 s4, s13, s4
	v_add_co_u32 v1, s2, s2, v1
	s_delay_alu instid0(VALU_DEP_1)
	v_add_co_ci_u32_e64 v2, null, s4, 0, s2
	v_mov_b32_e32 v3, v0
	s_mov_b32 s4, 0
	s_lshl_b32 s5, s17, 4
	.p2align	6
.LBB41_23:                              ; =>This Inner Loop Header: Depth=1
	global_load_b128 v[5:8], v[1:2], off
	v_add_co_u32 v1, vcc_lo, v1, s5
	v_add_co_ci_u32_e32 v2, vcc_lo, 0, v2, vcc_lo
	v_add_nc_u32_e32 v3, s17, v3
	s_delay_alu instid0(VALU_DEP_1) | instskip(NEXT) | instid1(VALU_DEP_1)
	v_cmp_le_i32_e64 s2, s11, v3
	s_or_b32 s4, s2, s4
	s_waitcnt vmcnt(0)
	v_lshlrev_b32_e32 v9, 16, v5
	v_and_b32_e32 v5, 0xffff0000, v5
	s_delay_alu instid0(VALU_DEP_2) | instskip(NEXT) | instid1(VALU_DEP_1)
	v_dual_fmac_f32 v4, v9, v9 :: v_dual_lshlrev_b32 v9, 16, v6
	v_dual_fmac_f32 v4, v5, v5 :: v_dual_and_b32 v5, 0xffff0000, v6
	v_lshlrev_b32_e32 v6, 16, v7
	s_delay_alu instid0(VALU_DEP_2) | instskip(NEXT) | instid1(VALU_DEP_1)
	v_fmac_f32_e32 v4, v9, v9
	v_dual_fmac_f32 v4, v5, v5 :: v_dual_and_b32 v5, 0xffff0000, v7
	s_delay_alu instid0(VALU_DEP_1) | instskip(SKIP_1) | instid1(VALU_DEP_2)
	v_fmac_f32_e32 v4, v6, v6
	v_lshlrev_b32_e32 v6, 16, v8
	v_dual_fmac_f32 v4, v5, v5 :: v_dual_and_b32 v5, 0xffff0000, v8
	s_delay_alu instid0(VALU_DEP_1) | instskip(NEXT) | instid1(VALU_DEP_1)
	v_fmac_f32_e32 v4, v6, v6
	v_fmac_f32_e32 v4, v5, v5
	s_and_not1_b32 exec_lo, exec_lo, s4
	s_cbranch_execnz .LBB41_23
; %bb.24:
	s_or_b32 exec_lo, exec_lo, s4
.LBB41_25:
	s_delay_alu instid0(SALU_CYCLE_1)
	s_or_b32 exec_lo, exec_lo, s10
.LBB41_26:
	v_mbcnt_lo_u32_b32 v1, -1, 0
	v_and_b32_e32 v3, 0x3e0, v0
	s_mov_b32 s2, exec_lo
	s_delay_alu instid0(VALU_DEP_2) | instskip(NEXT) | instid1(VALU_DEP_2)
	v_cmp_ne_u32_e32 vcc_lo, 31, v1
	v_sub_nc_u32_e64 v12, s17, v3 clamp
	v_add_nc_u32_e32 v3, 1, v1
	v_add_co_ci_u32_e32 v2, vcc_lo, 0, v1, vcc_lo
	v_cmp_gt_u32_e32 vcc_lo, 30, v1
	s_delay_alu instid0(VALU_DEP_2)
	v_lshlrev_b32_e32 v2, 2, v2
	v_cndmask_b32_e64 v6, 0, 1, vcc_lo
	v_cmp_lt_u32_e32 vcc_lo, v3, v12
	ds_bpermute_b32 v5, v2, v4
	s_waitcnt lgkmcnt(0)
	v_dual_add_f32 v7, v4, v5 :: v_dual_lshlrev_b32 v6, 1, v6
	s_delay_alu instid0(VALU_DEP_1) | instskip(NEXT) | instid1(VALU_DEP_2)
	v_cndmask_b32_e32 v7, v4, v7, vcc_lo
	v_add_lshl_u32 v5, v6, v1, 2
	v_cmp_gt_u32_e32 vcc_lo, 28, v1
	ds_bpermute_b32 v6, v5, v7
	v_cndmask_b32_e64 v4, 0, 1, vcc_lo
	s_delay_alu instid0(VALU_DEP_1) | instskip(SKIP_1) | instid1(VALU_DEP_1)
	v_lshlrev_b32_e32 v8, 2, v4
	v_add_nc_u32_e32 v4, 2, v1
	v_cmp_lt_u32_e32 vcc_lo, v4, v12
	s_waitcnt lgkmcnt(0)
	v_add_f32_e32 v9, v7, v6
	v_add_lshl_u32 v6, v8, v1, 2
	s_delay_alu instid0(VALU_DEP_2) | instskip(SKIP_2) | instid1(VALU_DEP_1)
	v_cndmask_b32_e32 v9, v7, v9, vcc_lo
	v_cmp_gt_u32_e32 vcc_lo, 24, v1
	v_cndmask_b32_e64 v7, 0, 1, vcc_lo
	v_lshlrev_b32_e32 v10, 3, v7
	ds_bpermute_b32 v8, v6, v9
	v_add_nc_u32_e32 v7, 4, v1
	s_delay_alu instid0(VALU_DEP_1) | instskip(SKIP_3) | instid1(VALU_DEP_2)
	v_cmp_lt_u32_e32 vcc_lo, v7, v12
	s_waitcnt lgkmcnt(0)
	v_add_f32_e32 v11, v9, v8
	v_add_lshl_u32 v8, v10, v1, 2
	v_cndmask_b32_e32 v11, v9, v11, vcc_lo
	v_cmp_gt_u32_e32 vcc_lo, 16, v1
	ds_bpermute_b32 v10, v8, v11
	v_cndmask_b32_e64 v9, 0, 1, vcc_lo
	s_delay_alu instid0(VALU_DEP_1) | instskip(SKIP_1) | instid1(VALU_DEP_1)
	v_lshlrev_b32_e32 v13, 4, v9
	v_add_nc_u32_e32 v9, 8, v1
	v_cmp_lt_u32_e32 vcc_lo, v9, v12
	s_waitcnt lgkmcnt(0)
	v_add_f32_e32 v14, v11, v10
	v_add_lshl_u32 v10, v13, v1, 2
	s_delay_alu instid0(VALU_DEP_2)
	v_cndmask_b32_e32 v13, v11, v14, vcc_lo
	v_add_nc_u32_e32 v11, 16, v1
	ds_bpermute_b32 v14, v10, v13
	v_cmp_lt_u32_e32 vcc_lo, v11, v12
	s_waitcnt lgkmcnt(0)
	v_add_f32_e32 v14, v13, v14
	s_delay_alu instid0(VALU_DEP_1)
	v_cndmask_b32_e32 v12, v13, v14, vcc_lo
	v_cmpx_eq_u32_e32 0, v1
	s_cbranch_execz .LBB41_28
; %bb.27:
	v_lshrrev_b32_e32 v13, 3, v0
	s_delay_alu instid0(VALU_DEP_1)
	v_and_b32_e32 v13, 0x7c, v13
	ds_store_b32 v13, v12
.LBB41_28:
	s_or_b32 exec_lo, exec_lo, s2
	s_delay_alu instid0(SALU_CYCLE_1)
	s_mov_b32 s2, exec_lo
	s_waitcnt lgkmcnt(0)
	s_barrier
	buffer_gl0_inv
	v_cmpx_gt_u32_e32 32, v0
	s_cbranch_execz .LBB41_30
; %bb.29:
	v_lshlrev_b32_e32 v1, 2, v1
	s_add_i32 s4, s17, 31
	s_delay_alu instid0(SALU_CYCLE_1) | instskip(NEXT) | instid1(SALU_CYCLE_1)
	s_lshr_b32 s4, s4, 5
	v_cmp_gt_u32_e32 vcc_lo, s4, v3
	ds_load_b32 v1, v1
	s_waitcnt lgkmcnt(0)
	ds_bpermute_b32 v2, v2, v1
	s_waitcnt lgkmcnt(0)
	v_add_f32_e32 v2, v1, v2
	s_delay_alu instid0(VALU_DEP_1) | instskip(SKIP_4) | instid1(VALU_DEP_1)
	v_cndmask_b32_e32 v1, v1, v2, vcc_lo
	v_cmp_gt_u32_e32 vcc_lo, s4, v4
	ds_bpermute_b32 v2, v5, v1
	s_waitcnt lgkmcnt(0)
	v_add_f32_e32 v2, v1, v2
	v_cndmask_b32_e32 v1, v1, v2, vcc_lo
	v_cmp_gt_u32_e32 vcc_lo, s4, v7
	ds_bpermute_b32 v2, v6, v1
	s_waitcnt lgkmcnt(0)
	v_add_f32_e32 v2, v1, v2
	s_delay_alu instid0(VALU_DEP_1) | instskip(SKIP_4) | instid1(VALU_DEP_1)
	v_cndmask_b32_e32 v1, v1, v2, vcc_lo
	v_cmp_gt_u32_e32 vcc_lo, s4, v9
	ds_bpermute_b32 v2, v8, v1
	s_waitcnt lgkmcnt(0)
	v_add_f32_e32 v2, v1, v2
	v_cndmask_b32_e32 v1, v1, v2, vcc_lo
	v_cmp_gt_u32_e32 vcc_lo, s4, v11
	ds_bpermute_b32 v2, v10, v1
	s_waitcnt lgkmcnt(0)
	v_add_f32_e32 v2, v1, v2
	s_delay_alu instid0(VALU_DEP_1)
	v_cndmask_b32_e32 v12, v1, v2, vcc_lo
.LBB41_30:
	s_or_b32 exec_lo, exec_lo, s2
	s_delay_alu instid0(SALU_CYCLE_1)
	s_mov_b32 s2, exec_lo
	v_cmpx_eq_u32_e32 0, v0
	s_cbranch_execz .LBB41_32
; %bb.31:
	v_cvt_f32_i32_e32 v1, s3
	s_load_b32 s4, s[0:1], 0x40
	s_delay_alu instid0(VALU_DEP_1) | instskip(SKIP_1) | instid1(VALU_DEP_2)
	v_div_scale_f32 v2, null, v1, v1, v12
	v_div_scale_f32 v5, vcc_lo, v12, v1, v12
	v_rcp_f32_e32 v3, v2
	s_waitcnt_depctr 0xfff
	v_fma_f32 v4, -v2, v3, 1.0
	s_delay_alu instid0(VALU_DEP_1) | instskip(NEXT) | instid1(VALU_DEP_1)
	v_fmac_f32_e32 v3, v4, v3
	v_mul_f32_e32 v4, v5, v3
	s_delay_alu instid0(VALU_DEP_1) | instskip(NEXT) | instid1(VALU_DEP_1)
	v_fma_f32 v6, -v2, v4, v5
	v_fmac_f32_e32 v4, v6, v3
	s_delay_alu instid0(VALU_DEP_1) | instskip(NEXT) | instid1(VALU_DEP_1)
	v_fma_f32 v2, -v2, v4, v5
	v_div_fmas_f32 v2, v2, v3, v4
	s_delay_alu instid0(VALU_DEP_1) | instskip(SKIP_1) | instid1(VALU_DEP_1)
	v_div_fixup_f32 v1, v2, v1, v12
	s_waitcnt lgkmcnt(0)
	v_add_f32_e32 v1, s4, v1
	s_delay_alu instid0(VALU_DEP_1) | instskip(SKIP_1) | instid1(VALU_DEP_2)
	v_mul_f32_e32 v2, 0x4b800000, v1
	v_cmp_gt_f32_e32 vcc_lo, 0x800000, v1
	v_cndmask_b32_e32 v1, v1, v2, vcc_lo
	s_delay_alu instid0(VALU_DEP_1) | instskip(SKIP_2) | instid1(VALU_DEP_1)
	v_rsq_f32_e32 v1, v1
	s_waitcnt_depctr 0xfff
	v_mul_f32_e32 v2, 0x45800000, v1
	v_dual_cndmask_b32 v1, v1, v2 :: v_dual_mov_b32 v2, 0
	ds_store_b32 v2, v1 offset:128
.LBB41_32:
	s_or_b32 exec_lo, exec_lo, s2
	s_ashr_i32 s2, s3, 31
	s_waitcnt lgkmcnt(0)
	s_lshr_b32 s2, s2, 29
	s_barrier
	s_add_i32 s2, s3, s2
	buffer_gl0_inv
	s_ashr_i32 s12, s2, 3
	s_mov_b32 s2, exec_lo
	v_cmpx_gt_i32_e64 s12, v0
	s_cbranch_execz .LBB41_44
; %bb.33:
	v_cvt_f32_u32_e32 v1, s17
	s_clause 0x1
	s_load_b64 s[4:5], s[0:1], 0x0
	s_load_b64 s[8:9], s[0:1], 0x38
	s_mul_i32 s10, s15, s3
	s_mov_b32 s11, 0
	v_rcp_iflag_f32_e32 v1, v1
	s_lshl_b64 s[0:1], s[10:11], 1
	v_add_nc_u32_e32 v3, s17, v0
	s_delay_alu instid0(VALU_DEP_1) | instskip(SKIP_3) | instid1(VALU_DEP_1)
	v_cmp_gt_i32_e32 vcc_lo, s12, v3
	v_max_i32_e32 v4, s12, v3
	s_waitcnt_depctr 0xfff
	v_mul_f32_e32 v1, 0x4f7ffffe, v1
	v_cvt_u32_f32_e32 v1, v1
	s_waitcnt lgkmcnt(0)
	s_add_u32 s10, s4, s0
	s_addc_u32 s13, s5, s1
	s_sub_i32 s0, 0, s17
	s_cmp_lg_u32 s17, 1
	v_mul_lo_u32 v2, s0, v1
	v_add_co_ci_u32_e64 v3, s0, s17, v0, vcc_lo
	s_delay_alu instid0(VALU_DEP_1) | instskip(NEXT) | instid1(VALU_DEP_3)
	v_sub_nc_u32_e32 v3, v4, v3
	v_mul_hi_u32 v2, v1, v2
	s_delay_alu instid0(VALU_DEP_1) | instskip(NEXT) | instid1(VALU_DEP_1)
	v_add_nc_u32_e32 v1, v1, v2
	v_mul_hi_u32 v1, v3, v1
	s_delay_alu instid0(VALU_DEP_1) | instskip(NEXT) | instid1(VALU_DEP_1)
	v_mul_lo_u32 v2, v1, s17
	v_sub_nc_u32_e32 v2, v3, v2
	v_add_nc_u32_e32 v3, 1, v1
	s_delay_alu instid0(VALU_DEP_2) | instskip(SKIP_1) | instid1(VALU_DEP_1)
	v_subrev_nc_u32_e32 v4, s17, v2
	v_cmp_le_u32_e64 s0, s17, v2
	v_cndmask_b32_e64 v1, v1, v3, s0
	s_delay_alu instid0(VALU_DEP_3) | instskip(NEXT) | instid1(VALU_DEP_2)
	v_cndmask_b32_e64 v2, v2, v4, s0
	v_dual_mov_b32 v3, 0 :: v_dual_add_nc_u32 v4, 1, v1
	s_delay_alu instid0(VALU_DEP_2) | instskip(SKIP_3) | instid1(VALU_DEP_1)
	v_cmp_le_u32_e64 s0, s17, v2
	ds_load_b32 v5, v3 offset:128
	v_cndmask_b32_e64 v1, v1, v4, s0
	s_cselect_b32 s0, -1, 0
	v_add_co_ci_u32_e32 v6, vcc_lo, 1, v1, vcc_lo
	s_delay_alu instid0(VALU_DEP_1) | instskip(SKIP_1) | instid1(SALU_CYCLE_1)
	v_cmp_gt_u32_e32 vcc_lo, 2, v6
	s_or_b32 s0, vcc_lo, s0
	s_and_saveexec_b32 s1, s0
	s_delay_alu instid0(SALU_CYCLE_1)
	s_xor_b32 s0, exec_lo, s1
	s_cbranch_execnz .LBB41_38
; %bb.34:
	s_and_not1_saveexec_b32 s15, s0
	s_cbranch_execnz .LBB41_39
.LBB41_35:
	s_or_b32 exec_lo, exec_lo, s15
	s_delay_alu instid0(SALU_CYCLE_1)
	s_and_b32 exec_lo, exec_lo, s11
	s_cbranch_execnz .LBB41_42
	s_branch .LBB41_44
.LBB41_36:
                                        ; implicit-def: $sgpr2_sgpr3
	s_branch .LBB41_2
.LBB41_37:
                                        ; implicit-def: $sgpr20_sgpr21
	s_branch .LBB41_5
.LBB41_38:
	s_mov_b32 s11, exec_lo
                                        ; implicit-def: $vgpr6
	s_and_not1_saveexec_b32 s15, s0
	s_cbranch_execz .LBB41_35
.LBB41_39:
	v_dual_mov_b32 v2, 0 :: v_dual_and_b32 v7, -2, v6
	v_add_nc_u32_e32 v1, 1, v0
	s_mov_b32 s18, 0
	s_delay_alu instid0(VALU_DEP_2) | instskip(NEXT) | instid1(VALU_DEP_2)
	v_mov_b32_e32 v8, v7
	v_dual_mov_b32 v4, v1 :: v_dual_mov_b32 v3, v0
.LBB41_40:                              ; =>This Inner Loop Header: Depth=1
	s_delay_alu instid0(VALU_DEP_1) | instskip(NEXT) | instid1(VALU_DEP_1)
	v_dual_mov_b32 v1, v3 :: v_dual_add_nc_u32 v8, -2, v8
	v_lshlrev_b64 v[25:26], 4, v[1:2]
	s_delay_alu instid0(VALU_DEP_1) | instskip(NEXT) | instid1(VALU_DEP_2)
	v_add_co_u32 v9, vcc_lo, s14, v25
	v_add_co_ci_u32_e32 v10, vcc_lo, s16, v26, vcc_lo
	v_add_co_u32 v13, vcc_lo, s8, v25
	v_add_co_ci_u32_e32 v14, vcc_lo, s9, v26, vcc_lo
	v_add_co_u32 v25, s0, s10, v25
	global_load_b128 v[9:12], v[9:10], off
	global_load_b128 v[13:16], v[13:14], off
	v_mov_b32_e32 v1, v4
	v_add_co_ci_u32_e64 v26, s0, s13, v26, s0
	v_add_nc_u32_e32 v4, 2, v4
	s_waitcnt vmcnt(1)
	v_lshlrev_b32_e32 v30, 16, v10
	v_lshlrev_b64 v[27:28], 4, v[1:2]
	v_and_b32_e32 v10, 0xffff0000, v10
	v_lshlrev_b32_e32 v1, 16, v9
	s_waitcnt lgkmcnt(0)
	v_dual_mul_f32 v30, v5, v30 :: v_dual_add_nc_u32 v3, 2, v3
	s_delay_alu instid0(VALU_DEP_4)
	v_add_co_u32 v17, vcc_lo, s14, v27
	v_add_co_ci_u32_e32 v18, vcc_lo, s16, v28, vcc_lo
	v_add_co_u32 v21, vcc_lo, s8, v27
	v_add_co_ci_u32_e32 v22, vcc_lo, s9, v28, vcc_lo
	global_load_b128 v[17:20], v[17:18], off
	global_load_b128 v[21:24], v[21:22], off
	v_mul_f32_e32 v10, v5, v10
	v_mul_f32_e32 v1, v5, v1
	v_bfe_u32 v46, v30, 16, 1
	v_add_co_u32 v27, s0, s10, v27
	s_delay_alu instid0(VALU_DEP_4) | instskip(NEXT) | instid1(VALU_DEP_4)
	v_bfe_u32 v47, v10, 16, 1
	v_bfe_u32 v44, v1, 16, 1
	s_delay_alu instid0(VALU_DEP_4) | instskip(SKIP_1) | instid1(VALU_DEP_4)
	v_add3_u32 v46, v30, v46, 0x7fff
	v_add_co_ci_u32_e64 v28, s0, s13, v28, s0
	v_add3_u32 v47, v10, v47, 0x7fff
	s_delay_alu instid0(VALU_DEP_4) | instskip(NEXT) | instid1(VALU_DEP_4)
	v_add3_u32 v44, v1, v44, 0x7fff
	v_and_b32_e32 v46, 0xffff0000, v46
	v_cmp_o_f32_e64 s1, v30, v30
	v_cmp_o_f32_e64 s2, v10, v10
	v_and_b32_e32 v47, 0xffff0000, v47
	v_and_b32_e32 v44, 0xffff0000, v44
	v_cmp_o_f32_e64 s7, v1, v1
	v_cmp_eq_u32_e32 vcc_lo, 0, v8
	s_or_b32 s18, vcc_lo, s18
	s_waitcnt vmcnt(1)
	v_lshlrev_b32_e32 v42, 16, v20
	v_lshlrev_b32_e32 v35, 16, v16
	;; [unrolled: 1-line block ×3, first 2 shown]
	v_and_b32_e32 v17, 0xffff0000, v17
	v_lshlrev_b32_e32 v32, 16, v11
	v_lshlrev_b32_e32 v38, 16, v18
	v_mul_f32_e32 v42, v5, v42
	v_and_b32_e32 v18, 0xffff0000, v18
	v_and_b32_e32 v11, 0xffff0000, v11
	v_dual_mul_f32 v36, v5, v36 :: v_dual_lshlrev_b32 v31, 16, v14
	v_lshlrev_b32_e32 v40, 16, v19
	s_delay_alu instid0(VALU_DEP_4) | instskip(NEXT) | instid1(VALU_DEP_4)
	v_mul_f32_e32 v18, v5, v18
	v_dual_mul_f32 v11, v5, v11 :: v_dual_lshlrev_b32 v34, 16, v12
	v_and_b32_e32 v9, 0xffff0000, v9
	v_dual_mul_f32 v38, v5, v38 :: v_dual_lshlrev_b32 v33, 16, v15
	s_delay_alu instid0(VALU_DEP_3) | instskip(NEXT) | instid1(VALU_DEP_3)
	v_mul_f32_e32 v34, v5, v34
	v_dual_mul_f32 v9, v5, v9 :: v_dual_and_b32 v14, 0xffff0000, v14
	v_dual_mul_f32 v40, v5, v40 :: v_dual_and_b32 v15, 0xffff0000, v15
	v_and_b32_e32 v19, 0xffff0000, v19
	v_dual_mul_f32 v17, v5, v17 :: v_dual_and_b32 v12, 0xffff0000, v12
	v_dual_mul_f32 v32, v5, v32 :: v_dual_lshlrev_b32 v29, 16, v13
	v_bfe_u32 v45, v9, 16, 1
	s_delay_alu instid0(VALU_DEP_4) | instskip(NEXT) | instid1(VALU_DEP_4)
	v_mul_f32_e32 v19, v5, v19
	v_dual_mul_f32 v12, v5, v12 :: v_dual_and_b32 v13, 0xffff0000, v13
	s_delay_alu instid0(VALU_DEP_4) | instskip(NEXT) | instid1(VALU_DEP_4)
	v_bfe_u32 v48, v32, 16, 1
	v_add3_u32 v45, v9, v45, 0x7fff
	v_bfe_u32 v56, v40, 16, 1
	v_bfe_u32 v53, v17, 16, 1
	;; [unrolled: 1-line block ×5, first 2 shown]
	v_add3_u32 v48, v32, v48, 0x7fff
	v_bfe_u32 v57, v19, 16, 1
	v_and_b32_e32 v45, 0xffff0000, v45
	v_cmp_o_f32_e64 s0, v9, v9
	v_add3_u32 v10, v40, v56, 0x7fff
	v_add3_u32 v51, v12, v51, 0x7fff
	;; [unrolled: 1-line block ×5, first 2 shown]
	v_and_b32_e32 v48, 0xffff0000, v48
	v_cmp_o_f32_e64 s3, v32, v32
	v_add3_u32 v32, v19, v57, 0x7fff
	v_cmp_o_f32_e64 s6, v12, v12
	v_cndmask_b32_e64 v12, 0x7fc00000, v44, s7
	v_cmp_o_f32_e64 s7, v17, v17
	v_cndmask_b32_e64 v17, 0x7fc00000, v45, s0
	;; [unrolled: 2-line block ×4, first 2 shown]
	v_and_b32_e32 v10, 0xffff0000, v10
	v_cmp_o_f32_e64 s2, v40, v40
	v_cndmask_b32_e64 v40, 0x7fc00000, v48, s3
	s_waitcnt vmcnt(0)
	v_lshlrev_b32_e32 v41, 16, v23
	v_and_b32_e32 v32, 0xffff0000, v32
	v_cmp_o_f32_e64 s3, v19, v19
	v_cndmask_b32_e64 v10, 0x7fc00000, v10, s2
	v_dual_mul_f32 v13, v17, v13 :: v_dual_and_b32 v16, 0xffff0000, v16
	v_mul_f32_e32 v17, v38, v31
	v_mul_f32_e32 v14, v18, v14
	v_dual_mul_f32 v18, v40, v33 :: v_dual_and_b32 v23, 0xffff0000, v23
	v_mul_f32_e32 v10, v10, v41
	v_cndmask_b32_e64 v31, 0x7fc00000, v32, s3
	v_and_b32_e32 v20, 0xffff0000, v20
	v_bfe_u32 v49, v11, 16, 1
	v_bfe_u32 v50, v34, 16, 1
	;; [unrolled: 1-line block ×3, first 2 shown]
	v_mul_f32_e32 v23, v31, v23
	v_dual_mul_f32 v20, v5, v20 :: v_dual_lshlrev_b32 v37, 16, v21
	v_add3_u32 v49, v11, v49, 0x7fff
	v_bfe_u32 v58, v42, 16, 1
	v_add3_u32 v50, v34, v50, 0x7fff
	v_add3_u32 v52, v36, v52, 0x7fff
	v_bfe_u32 v59, v20, 16, 1
	v_and_b32_e32 v49, 0xffff0000, v49
	v_cmp_o_f32_e64 s4, v11, v11
	v_add3_u32 v11, v42, v58, 0x7fff
	v_and_b32_e32 v50, 0xffff0000, v50
	v_cmp_o_f32_e64 s5, v34, v34
	v_add3_u32 v34, v20, v59, 0x7fff
	v_and_b32_e32 v51, 0xffff0000, v51
	v_and_b32_e32 v1, 0xffff0000, v52
	;; [unrolled: 1-line block ×5, first 2 shown]
	v_cndmask_b32_e64 v19, 0x7fc00000, v49, s4
	v_and_b32_e32 v11, 0xffff0000, v11
	v_cmp_o_f32_e64 s4, v42, v42
	v_cndmask_b32_e64 v42, 0x7fc00000, v50, s5
	v_and_b32_e32 v34, 0xffff0000, v34
	v_cmp_o_f32_e64 s5, v20, v20
	v_cndmask_b32_e64 v20, 0x7fc00000, v51, s6
	v_cmp_o_f32_e64 s6, v36, v36
	v_and_b32_e32 v21, 0xffff0000, v21
	v_dual_mul_f32 v12, v12, v29 :: v_dual_lshlrev_b32 v39, 16, v22
	v_lshlrev_b32_e32 v43, 16, v24
	s_delay_alu instid0(VALU_DEP_4)
	v_cndmask_b32_e64 v1, 0x7fc00000, v1, s6
	v_and_b32_e32 v22, 0xffff0000, v22
	v_cndmask_b32_e64 v29, 0x7fc00000, v44, s7
	v_cndmask_b32_e64 v9, 0x7fc00000, v9, s0
	;; [unrolled: 1-line block ×3, first 2 shown]
	v_mul_f32_e32 v1, v1, v37
	v_mul_f32_e32 v15, v19, v15
	v_cndmask_b32_e64 v11, 0x7fc00000, v11, s4
	v_dual_mul_f32 v19, v42, v35 :: v_dual_and_b32 v24, 0xffff0000, v24
	v_cndmask_b32_e64 v32, 0x7fc00000, v34, s5
	s_delay_alu instid0(VALU_DEP_3)
	v_dual_mul_f32 v16, v20, v16 :: v_dual_mul_f32 v11, v11, v43
	v_bfe_u32 v20, v12, 16, 1
	v_mul_f32_e32 v21, v29, v21
	v_bfe_u32 v29, v13, 16, 1
	v_mul_f32_e32 v9, v9, v39
	;; [unrolled: 2-line block ×3, first 2 shown]
	v_bfe_u32 v30, v14, 16, 1
	v_bfe_u32 v34, v18, 16, 1
	;; [unrolled: 1-line block ×4, first 2 shown]
	v_mul_f32_e32 v24, v32, v24
	v_bfe_u32 v32, v16, 16, 1
	v_bfe_u32 v36, v1, 16, 1
	v_add3_u32 v20, v12, v20, 0x7fff
	v_bfe_u32 v37, v21, 16, 1
	v_add3_u32 v29, v13, v29, 0x7fff
	v_bfe_u32 v38, v9, 16, 1
	v_add3_u32 v33, v17, v33, 0x7fff
	v_bfe_u32 v39, v22, 16, 1
	v_add3_u32 v30, v14, v30, 0x7fff
	v_bfe_u32 v40, v10, 16, 1
	v_add3_u32 v34, v18, v34, 0x7fff
	v_bfe_u32 v41, v23, 16, 1
	v_add3_u32 v31, v15, v31, 0x7fff
	v_bfe_u32 v42, v11, 16, 1
	v_add3_u32 v35, v19, v35, 0x7fff
	v_bfe_u32 v43, v24, 16, 1
	v_add3_u32 v32, v16, v32, 0x7fff
	v_add3_u32 v36, v1, v36, 0x7fff
	v_lshrrev_b32_e32 v20, 16, v20
	v_add3_u32 v37, v21, v37, 0x7fff
	v_lshrrev_b32_e32 v29, 16, v29
	v_cmp_o_f32_e64 s0, v13, v13
	v_add3_u32 v13, v9, v38, 0x7fff
	v_lshrrev_b32_e32 v33, 16, v33
	v_cmp_o_f32_e64 s1, v17, v17
	v_add3_u32 v17, v22, v39, 0x7fff
	v_lshrrev_b32_e32 v30, 16, v30
	v_cmp_o_f32_e64 s2, v14, v14
	v_add3_u32 v14, v10, v40, 0x7fff
	v_lshrrev_b32_e32 v34, 16, v34
	v_cmp_o_f32_e64 s3, v18, v18
	v_add3_u32 v18, v23, v41, 0x7fff
	v_lshrrev_b32_e32 v31, 16, v31
	v_cmp_o_f32_e64 s4, v15, v15
	v_add3_u32 v15, v11, v42, 0x7fff
	v_lshrrev_b32_e32 v35, 16, v35
	v_cmp_o_f32_e64 s5, v19, v19
	v_add3_u32 v19, v24, v43, 0x7fff
	v_lshrrev_b32_e32 v32, 16, v32
	v_cmp_o_f32_e64 s6, v16, v16
	v_cmp_o_f32_e64 s7, v12, v12
	v_lshrrev_b32_e32 v12, 16, v36
	v_lshrrev_b32_e32 v13, 16, v13
	;; [unrolled: 1-line block ×4, first 2 shown]
	v_cndmask_b32_e64 v16, 0x7fc0, v20, s7
	v_lshrrev_b32_e32 v20, 16, v37
	v_cmp_o_f32_e64 s7, v21, v21
	v_cndmask_b32_e64 v21, 0x7fc0, v29, s0
	v_cmp_o_f32_e64 s0, v9, v9
	v_cndmask_b32_e64 v29, 0x7fc0, v33, s1
	v_lshrrev_b32_e32 v9, 16, v17
	v_cmp_o_f32_e64 s1, v22, v22
	v_cndmask_b32_e64 v17, 0x7fc0, v30, s2
	v_cmp_o_f32_e64 s2, v10, v10
	;; [unrolled: 5-line block ×4, first 2 shown]
	v_cndmask_b32_e64 v20, 0x7fc0, v20, s7
	v_cndmask_b32_e64 v24, 0x7fc0, v13, s0
	;; [unrolled: 1-line block ×8, first 2 shown]
	v_perm_b32 v9, v21, v16, 0x5040100
	v_perm_b32 v10, v17, v29, 0x5040100
	;; [unrolled: 1-line block ×8, first 2 shown]
	s_clause 0x1
	global_store_b128 v[25:26], v[9:12], off
	global_store_b128 v[27:28], v[13:16], off
	s_and_not1_b32 exec_lo, exec_lo, s18
	s_cbranch_execnz .LBB41_40
; %bb.41:
	s_or_b32 exec_lo, exec_lo, s18
	v_cmp_ne_u32_e32 vcc_lo, v6, v7
	v_add_nc_u32_e32 v0, v0, v7
	s_and_not1_b32 s0, s11, exec_lo
	s_and_b32 s1, vcc_lo, exec_lo
	s_delay_alu instid0(SALU_CYCLE_1) | instskip(SKIP_1) | instid1(SALU_CYCLE_1)
	s_or_b32 s11, s0, s1
	s_or_b32 exec_lo, exec_lo, s15
	s_and_b32 exec_lo, exec_lo, s11
	s_cbranch_execz .LBB41_44
.LBB41_42:
	v_mov_b32_e32 v1, 0
	s_waitcnt lgkmcnt(0)
	v_mov_b32_e32 v3, v5
	s_mov_b32 s7, 0
	s_lshl_b32 s11, s17, 4
	v_lshlrev_b64 v[1:2], 4, v[0:1]
.LBB41_43:                              ; =>This Inner Loop Header: Depth=1
	s_delay_alu instid0(VALU_DEP_1) | instskip(NEXT) | instid1(VALU_DEP_2)
	v_add_co_u32 v6, vcc_lo, s14, v1
	v_add_co_ci_u32_e32 v7, vcc_lo, s16, v2, vcc_lo
	v_add_co_u32 v10, vcc_lo, s8, v1
	v_add_co_ci_u32_e32 v11, vcc_lo, s9, v2, vcc_lo
	v_add_co_u32 v14, vcc_lo, s10, v1
	global_load_b128 v[6:9], v[6:7], off
	global_load_b128 v[10:13], v[10:11], off
	v_add_co_ci_u32_e32 v15, vcc_lo, s13, v2, vcc_lo
	s_add_u32 s10, s10, s11
	s_addc_u32 s13, s13, 0
	s_add_u32 s14, s14, s11
	s_addc_u32 s16, s16, 0
	;; [unrolled: 2-line block ×3, first 2 shown]
	s_waitcnt vmcnt(1)
	v_lshlrev_b32_e32 v17, 16, v7
	v_lshlrev_b32_e32 v4, 16, v6
	;; [unrolled: 1-line block ×3, first 2 shown]
	v_and_b32_e32 v6, 0xffff0000, v6
	v_and_b32_e32 v8, 0xffff0000, v8
	s_waitcnt vmcnt(0)
	s_delay_alu instid0(VALU_DEP_3) | instskip(NEXT) | instid1(VALU_DEP_3)
	v_dual_mul_f32 v19, v5, v19 :: v_dual_and_b32 v20, 0xffff0000, v12
	v_dual_mul_f32 v6, v3, v6 :: v_dual_mul_f32 v17, v5, v17
	v_dual_mul_f32 v4, v5, v4 :: v_dual_and_b32 v7, 0xffff0000, v7
	v_add_nc_u32_e32 v0, s17, v0
	s_delay_alu instid0(VALU_DEP_3) | instskip(SKIP_1) | instid1(VALU_DEP_4)
	v_bfe_u32 v24, v6, 16, 1
	v_cmp_o_f32_e64 s6, v6, v6
	v_mul_f32_e32 v7, v3, v7
	v_bfe_u32 v23, v4, 16, 1
	v_cmp_o_f32_e32 vcc_lo, v4, v4
	v_add3_u32 v24, v6, v24, 0x7fff
	v_bfe_u32 v25, v17, 16, 1
	v_bfe_u32 v26, v7, 16, 1
	v_add3_u32 v23, v4, v23, 0x7fff
	v_bfe_u32 v27, v19, 16, 1
	v_and_b32_e32 v24, 0xffff0000, v24
	v_add3_u32 v25, v17, v25, 0x7fff
	v_add3_u32 v26, v7, v26, 0x7fff
	v_and_b32_e32 v23, 0xffff0000, v23
	v_lshlrev_b32_e32 v12, 16, v12
	v_cndmask_b32_e64 v6, 0x7fc00000, v24, s6
	v_lshlrev_b32_e32 v21, 16, v9
	v_and_b32_e32 v9, 0xffff0000, v9
	v_and_b32_e32 v16, 0xffff0000, v10
	v_add3_u32 v27, v19, v27, 0x7fff
	v_cmp_o_f32_e64 s1, v17, v17
	v_cmp_o_f32_e64 s0, v7, v7
	s_delay_alu instid0(VALU_DEP_4) | instskip(SKIP_2) | instid1(VALU_DEP_3)
	v_dual_mul_f32 v9, v3, v9 :: v_dual_mul_f32 v6, v6, v16
	v_dual_mul_f32 v21, v5, v21 :: v_dual_lshlrev_b32 v10, 16, v10
	v_mul_f32_e32 v8, v3, v8
	v_bfe_u32 v30, v9, 16, 1
	v_cmp_o_f32_e64 s4, v9, v9
	v_and_b32_e32 v7, 0xffff0000, v27
	v_bfe_u32 v29, v21, 16, 1
	v_bfe_u32 v28, v8, 16, 1
	v_add3_u32 v30, v9, v30, 0x7fff
	v_cndmask_b32_e32 v9, 0x7fc00000, v23, vcc_lo
	v_and_b32_e32 v18, 0xffff0000, v11
	v_lshlrev_b32_e32 v11, 16, v11
	v_add3_u32 v28, v8, v28, 0x7fff
	v_add3_u32 v29, v21, v29, 0x7fff
	v_cmp_o_f32_e64 s2, v8, v8
	v_cmp_o_f32_e64 s3, v19, v19
	v_and_b32_e32 v19, 0xffff0000, v30
	v_and_b32_e32 v17, 0xffff0000, v28
	;; [unrolled: 1-line block ×3, first 2 shown]
	v_cmp_o_f32_e64 s5, v21, v21
	v_cndmask_b32_e64 v7, 0x7fc00000, v7, s3
	v_and_b32_e32 v22, 0xffff0000, v13
	v_cndmask_b32_e64 v17, 0x7fc00000, v17, s2
	v_and_b32_e32 v4, 0xffff0000, v25
	v_and_b32_e32 v25, 0xffff0000, v26
	v_cndmask_b32_e64 v19, 0x7fc00000, v19, s4
	v_lshlrev_b32_e32 v13, 16, v13
	v_cndmask_b32_e64 v8, 0x7fc00000, v8, s5
	v_cndmask_b32_e64 v4, 0x7fc00000, v4, s1
	v_cndmask_b32_e64 v21, 0x7fc00000, v25, s0
	v_mul_f32_e32 v9, v9, v10
	v_mul_f32_e32 v7, v7, v12
	;; [unrolled: 1-line block ×5, first 2 shown]
	v_dual_mul_f32 v11, v17, v20 :: v_dual_mul_f32 v8, v8, v13
	v_bfe_u32 v13, v6, 16, 1
	v_bfe_u32 v16, v9, 16, 1
	s_delay_alu instid0(VALU_DEP_4)
	v_bfe_u32 v17, v10, 16, 1
	v_bfe_u32 v18, v4, 16, 1
	;; [unrolled: 1-line block ×6, first 2 shown]
	v_add3_u32 v16, v9, v16, 0x7fff
	v_add3_u32 v13, v6, v13, 0x7fff
	;; [unrolled: 1-line block ×8, first 2 shown]
	v_lshrrev_b32_e32 v13, 16, v13
	v_lshrrev_b32_e32 v16, 16, v16
	v_cmp_o_f32_e32 vcc_lo, v9, v9
	v_lshrrev_b32_e32 v9, 16, v17
	v_lshrrev_b32_e32 v17, 16, v18
	v_cmp_o_f32_e64 s0, v10, v10
	v_cmp_o_f32_e64 s1, v4, v4
	v_lshrrev_b32_e32 v4, 16, v19
	v_lshrrev_b32_e32 v10, 16, v20
	v_cmp_o_f32_e64 s2, v11, v11
	v_cmp_o_f32_e64 s3, v7, v7
	;; [unrolled: 4-line block ×3, first 2 shown]
	v_cmp_o_f32_e64 s6, v6, v6
	v_cndmask_b32_e64 v12, 0x7fc0, v9, s0
	v_cndmask_b32_e64 v4, 0x7fc0, v4, s2
	;; [unrolled: 1-line block ×7, first 2 shown]
	v_cndmask_b32_e32 v13, 0x7fc0, v16, vcc_lo
	v_cmp_le_i32_e32 vcc_lo, s12, v0
	v_perm_b32 v9, v7, v8, 0x5040100
	v_perm_b32 v8, v4, v10, 0x5040100
	;; [unrolled: 1-line block ×4, first 2 shown]
	s_or_b32 s7, vcc_lo, s7
	global_store_b128 v[14:15], v[6:9], off
	s_and_not1_b32 exec_lo, exec_lo, s7
	s_cbranch_execnz .LBB41_43
.LBB41_44:
	s_nop 0
	s_sendmsg sendmsg(MSG_DEALLOC_VGPRS)
	s_endpgm
	.section	.rodata,"a",@progbits
	.p2align	6, 0x0
	.amdhsa_kernel _ZN4vllm15rms_norm_kernelIN3c108BFloat16ELi8ELi4EEEvPT_PKS3_lllllS6_fii
		.amdhsa_group_segment_fixed_size 132
		.amdhsa_private_segment_fixed_size 0
		.amdhsa_kernarg_size 336
		.amdhsa_user_sgpr_count 15
		.amdhsa_user_sgpr_dispatch_ptr 0
		.amdhsa_user_sgpr_queue_ptr 0
		.amdhsa_user_sgpr_kernarg_segment_ptr 1
		.amdhsa_user_sgpr_dispatch_id 0
		.amdhsa_user_sgpr_private_segment_size 0
		.amdhsa_wavefront_size32 1
		.amdhsa_uses_dynamic_stack 0
		.amdhsa_enable_private_segment 0
		.amdhsa_system_sgpr_workgroup_id_x 1
		.amdhsa_system_sgpr_workgroup_id_y 0
		.amdhsa_system_sgpr_workgroup_id_z 0
		.amdhsa_system_sgpr_workgroup_info 0
		.amdhsa_system_vgpr_workitem_id 0
		.amdhsa_next_free_vgpr 60
		.amdhsa_next_free_sgpr 35
		.amdhsa_reserve_vcc 1
		.amdhsa_float_round_mode_32 0
		.amdhsa_float_round_mode_16_64 0
		.amdhsa_float_denorm_mode_32 3
		.amdhsa_float_denorm_mode_16_64 3
		.amdhsa_dx10_clamp 1
		.amdhsa_ieee_mode 1
		.amdhsa_fp16_overflow 0
		.amdhsa_workgroup_processor_mode 1
		.amdhsa_memory_ordered 1
		.amdhsa_forward_progress 0
		.amdhsa_shared_vgpr_count 0
		.amdhsa_exception_fp_ieee_invalid_op 0
		.amdhsa_exception_fp_denorm_src 0
		.amdhsa_exception_fp_ieee_div_zero 0
		.amdhsa_exception_fp_ieee_overflow 0
		.amdhsa_exception_fp_ieee_underflow 0
		.amdhsa_exception_fp_ieee_inexact 0
		.amdhsa_exception_int_div_zero 0
	.end_amdhsa_kernel
	.section	.text._ZN4vllm15rms_norm_kernelIN3c108BFloat16ELi8ELi4EEEvPT_PKS3_lllllS6_fii,"axG",@progbits,_ZN4vllm15rms_norm_kernelIN3c108BFloat16ELi8ELi4EEEvPT_PKS3_lllllS6_fii,comdat
.Lfunc_end41:
	.size	_ZN4vllm15rms_norm_kernelIN3c108BFloat16ELi8ELi4EEEvPT_PKS3_lllllS6_fii, .Lfunc_end41-_ZN4vllm15rms_norm_kernelIN3c108BFloat16ELi8ELi4EEEvPT_PKS3_lllllS6_fii
                                        ; -- End function
	.section	.AMDGPU.csdata,"",@progbits
; Kernel info:
; codeLenInByte = 7080
; NumSgprs: 37
; NumVgprs: 60
; ScratchSize: 0
; MemoryBound: 0
; FloatMode: 240
; IeeeMode: 1
; LDSByteSize: 132 bytes/workgroup (compile time only)
; SGPRBlocks: 4
; VGPRBlocks: 7
; NumSGPRsForWavesPerEU: 37
; NumVGPRsForWavesPerEU: 60
; Occupancy: 16
; WaveLimiterHint : 0
; COMPUTE_PGM_RSRC2:SCRATCH_EN: 0
; COMPUTE_PGM_RSRC2:USER_SGPR: 15
; COMPUTE_PGM_RSRC2:TRAP_HANDLER: 0
; COMPUTE_PGM_RSRC2:TGID_X_EN: 1
; COMPUTE_PGM_RSRC2:TGID_Y_EN: 0
; COMPUTE_PGM_RSRC2:TGID_Z_EN: 0
; COMPUTE_PGM_RSRC2:TIDIG_COMP_CNT: 0
	.section	.text._ZN4vllm15rms_norm_kernelIN3c108BFloat16ELi4ELi4EEEvPT_PKS3_lllllS6_fii,"axG",@progbits,_ZN4vllm15rms_norm_kernelIN3c108BFloat16ELi4ELi4EEEvPT_PKS3_lllllS6_fii,comdat
	.protected	_ZN4vllm15rms_norm_kernelIN3c108BFloat16ELi4ELi4EEEvPT_PKS3_lllllS6_fii ; -- Begin function _ZN4vllm15rms_norm_kernelIN3c108BFloat16ELi4ELi4EEEvPT_PKS3_lllllS6_fii
	.globl	_ZN4vllm15rms_norm_kernelIN3c108BFloat16ELi4ELi4EEEvPT_PKS3_lllllS6_fii
	.p2align	8
	.type	_ZN4vllm15rms_norm_kernelIN3c108BFloat16ELi4ELi4EEEvPT_PKS3_lllllS6_fii,@function
_ZN4vllm15rms_norm_kernelIN3c108BFloat16ELi4ELi4EEEvPT_PKS3_lllllS6_fii: ; @_ZN4vllm15rms_norm_kernelIN3c108BFloat16ELi4ELi4EEEvPT_PKS3_lllllS6_fii
; %bb.0:
	s_clause 0x1
	s_load_b256 s[4:11], s[0:1], 0x10
	s_load_b64 s[2:3], s[0:1], 0x30
	s_waitcnt lgkmcnt(0)
	s_mul_i32 s12, s2, s11
	s_mul_hi_u32 s13, s2, s10
	s_mul_i32 s3, s3, s10
	s_add_i32 s13, s13, s12
	s_mov_b32 s12, 0
	s_add_i32 s13, s13, s3
	s_mul_i32 s14, s2, s10
	s_cmp_lg_u64 s[12:13], 0
	s_cbranch_scc0 .LBB42_36
; %bb.1:
	s_ashr_i32 s16, s13, 31
	s_delay_alu instid0(SALU_CYCLE_1) | instskip(SKIP_2) | instid1(SALU_CYCLE_1)
	s_add_u32 s2, s14, s16
	s_mov_b32 s17, s16
	s_addc_u32 s3, s13, s16
	s_xor_b64 s[2:3], s[2:3], s[16:17]
	s_delay_alu instid0(SALU_CYCLE_1) | instskip(SKIP_3) | instid1(VALU_DEP_1)
	v_cvt_f32_u32_e32 v1, s2
	v_cvt_f32_u32_e32 v2, s3
	s_sub_u32 s19, 0, s2
	s_subb_u32 s20, 0, s3
	v_fmamk_f32 v1, v2, 0x4f800000, v1
	s_delay_alu instid0(VALU_DEP_1) | instskip(SKIP_2) | instid1(VALU_DEP_1)
	v_rcp_f32_e32 v1, v1
	s_waitcnt_depctr 0xfff
	v_mul_f32_e32 v1, 0x5f7ffffc, v1
	v_mul_f32_e32 v2, 0x2f800000, v1
	s_delay_alu instid0(VALU_DEP_1) | instskip(NEXT) | instid1(VALU_DEP_1)
	v_trunc_f32_e32 v2, v2
	v_fmamk_f32 v1, v2, 0xcf800000, v1
	v_cvt_u32_f32_e32 v2, v2
	s_delay_alu instid0(VALU_DEP_2) | instskip(NEXT) | instid1(VALU_DEP_2)
	v_cvt_u32_f32_e32 v1, v1
	v_readfirstlane_b32 s13, v2
	s_delay_alu instid0(VALU_DEP_2) | instskip(NEXT) | instid1(VALU_DEP_2)
	v_readfirstlane_b32 s18, v1
	s_mul_i32 s21, s19, s13
	s_delay_alu instid0(VALU_DEP_1)
	s_mul_hi_u32 s23, s19, s18
	s_mul_i32 s22, s20, s18
	s_add_i32 s21, s23, s21
	s_mul_i32 s24, s19, s18
	s_add_i32 s21, s21, s22
	s_mul_hi_u32 s23, s18, s24
	s_mul_hi_u32 s25, s13, s24
	s_mul_i32 s22, s13, s24
	s_mul_hi_u32 s24, s18, s21
	s_mul_i32 s18, s18, s21
	s_mul_hi_u32 s26, s13, s21
	s_add_u32 s18, s23, s18
	s_addc_u32 s23, 0, s24
	s_add_u32 s18, s18, s22
	s_mul_i32 s21, s13, s21
	s_addc_u32 s18, s23, s25
	s_addc_u32 s22, s26, 0
	s_add_u32 s18, s18, s21
	s_addc_u32 s21, 0, s22
	v_add_co_u32 v1, s18, v1, s18
	s_delay_alu instid0(VALU_DEP_1) | instskip(SKIP_1) | instid1(VALU_DEP_1)
	s_cmp_lg_u32 s18, 0
	s_addc_u32 s13, s13, s21
	v_readfirstlane_b32 s18, v1
	s_mul_i32 s21, s19, s13
	s_delay_alu instid0(VALU_DEP_1)
	s_mul_hi_u32 s22, s19, s18
	s_mul_i32 s20, s20, s18
	s_add_i32 s21, s22, s21
	s_mul_i32 s19, s19, s18
	s_add_i32 s21, s21, s20
	s_mul_hi_u32 s22, s13, s19
	s_mul_i32 s23, s13, s19
	s_mul_hi_u32 s19, s18, s19
	s_mul_hi_u32 s24, s18, s21
	s_mul_i32 s18, s18, s21
	s_mul_hi_u32 s20, s13, s21
	s_add_u32 s18, s19, s18
	s_addc_u32 s19, 0, s24
	s_add_u32 s18, s18, s23
	s_mul_i32 s21, s13, s21
	s_addc_u32 s18, s19, s22
	s_addc_u32 s19, s20, 0
	s_add_u32 s18, s18, s21
	s_addc_u32 s19, 0, s19
	v_add_co_u32 v1, s18, v1, s18
	s_delay_alu instid0(VALU_DEP_1) | instskip(SKIP_1) | instid1(VALU_DEP_1)
	s_cmp_lg_u32 s18, 0
	s_addc_u32 s13, s13, s19
	v_readfirstlane_b32 s18, v1
	s_mul_i32 s19, s15, s13
	s_mul_hi_u32 s13, s15, s13
	s_delay_alu instid0(VALU_DEP_1) | instskip(NEXT) | instid1(SALU_CYCLE_1)
	s_mul_hi_u32 s18, s15, s18
	s_add_u32 s18, s18, s19
	s_addc_u32 s13, 0, s13
	s_add_u32 s18, s18, 0
	s_addc_u32 s13, s13, 0
	s_addc_u32 s18, 0, 0
	s_add_u32 s13, s13, 0
	s_addc_u32 s18, 0, s18
	s_mul_hi_u32 s19, s2, s13
	s_mul_i32 s21, s2, s18
	s_mul_i32 s22, s2, s13
	s_add_i32 s19, s19, s21
	v_sub_co_u32 v1, s21, s15, s22
	s_mul_i32 s20, s3, s13
	s_delay_alu instid0(SALU_CYCLE_1) | instskip(NEXT) | instid1(VALU_DEP_1)
	s_add_i32 s19, s19, s20
	v_sub_co_u32 v2, s22, v1, s2
	s_sub_i32 s20, 0, s19
	s_cmp_lg_u32 s21, 0
	s_subb_u32 s20, s20, s3
	s_cmp_lg_u32 s22, 0
	v_readfirstlane_b32 s22, v2
	s_subb_u32 s20, s20, 0
	s_delay_alu instid0(SALU_CYCLE_1) | instskip(SKIP_1) | instid1(VALU_DEP_1)
	s_cmp_ge_u32 s20, s3
	s_cselect_b32 s23, -1, 0
	s_cmp_ge_u32 s22, s2
	s_cselect_b32 s22, -1, 0
	s_cmp_eq_u32 s20, s3
	s_cselect_b32 s20, s22, s23
	s_add_u32 s22, s13, 1
	s_addc_u32 s23, s18, 0
	s_add_u32 s24, s13, 2
	s_addc_u32 s25, s18, 0
	s_cmp_lg_u32 s20, 0
	s_cselect_b32 s20, s24, s22
	s_cselect_b32 s22, s25, s23
	s_cmp_lg_u32 s21, 0
	v_readfirstlane_b32 s21, v1
	s_subb_u32 s19, 0, s19
	s_delay_alu instid0(SALU_CYCLE_1) | instskip(SKIP_1) | instid1(VALU_DEP_1)
	s_cmp_ge_u32 s19, s3
	s_cselect_b32 s23, -1, 0
	s_cmp_ge_u32 s21, s2
	s_cselect_b32 s2, -1, 0
	s_cmp_eq_u32 s19, s3
	s_cselect_b32 s2, s2, s23
	s_delay_alu instid0(SALU_CYCLE_1) | instskip(SKIP_2) | instid1(SALU_CYCLE_1)
	s_cmp_lg_u32 s2, 0
	s_cselect_b32 s3, s22, s18
	s_cselect_b32 s2, s20, s13
	s_xor_b64 s[2:3], s[2:3], s[16:17]
	s_delay_alu instid0(SALU_CYCLE_1)
	s_sub_u32 s2, s2, s16
	s_subb_u32 s3, s3, s16
	s_and_not1_b32 vcc_lo, exec_lo, s12
	s_cbranch_vccnz .LBB42_3
.LBB42_2:
	v_cvt_f32_u32_e32 v1, s14
	s_sub_i32 s3, 0, s14
	s_delay_alu instid0(VALU_DEP_1) | instskip(SKIP_2) | instid1(VALU_DEP_1)
	v_rcp_iflag_f32_e32 v1, v1
	s_waitcnt_depctr 0xfff
	v_mul_f32_e32 v1, 0x4f7ffffe, v1
	v_cvt_u32_f32_e32 v1, v1
	s_delay_alu instid0(VALU_DEP_1) | instskip(NEXT) | instid1(VALU_DEP_1)
	v_readfirstlane_b32 s2, v1
	s_mul_i32 s3, s3, s2
	s_delay_alu instid0(SALU_CYCLE_1) | instskip(NEXT) | instid1(SALU_CYCLE_1)
	s_mul_hi_u32 s3, s2, s3
	s_add_i32 s2, s2, s3
	s_delay_alu instid0(SALU_CYCLE_1) | instskip(NEXT) | instid1(SALU_CYCLE_1)
	s_mul_hi_u32 s2, s15, s2
	s_mul_i32 s3, s2, s14
	s_add_i32 s12, s2, 1
	s_sub_i32 s3, s15, s3
	s_delay_alu instid0(SALU_CYCLE_1)
	s_sub_i32 s13, s3, s14
	s_cmp_ge_u32 s3, s14
	s_cselect_b32 s2, s12, s2
	s_cselect_b32 s3, s13, s3
	s_add_i32 s12, s2, 1
	s_cmp_ge_u32 s3, s14
	s_mov_b32 s3, 0
	s_cselect_b32 s2, s12, s2
.LBB42_3:
	s_load_b64 s[12:13], s[0:1], 0x8
	s_mul_i32 s14, s2, s14
	s_delay_alu instid0(SALU_CYCLE_1) | instskip(NEXT) | instid1(SALU_CYCLE_1)
	s_sub_i32 s16, s15, s14
	s_ashr_i32 s17, s16, 31
	s_delay_alu instid0(SALU_CYCLE_1) | instskip(SKIP_1) | instid1(SALU_CYCLE_1)
	s_or_b64 s[18:19], s[16:17], s[10:11]
	s_mov_b32 s18, 0
	s_cmp_lg_u64 s[18:19], 0
	s_cbranch_scc0 .LBB42_37
; %bb.4:
	s_ashr_i32 s20, s11, 31
	s_delay_alu instid0(SALU_CYCLE_1) | instskip(SKIP_2) | instid1(SALU_CYCLE_1)
	s_add_u32 s22, s10, s20
	s_mov_b32 s21, s20
	s_addc_u32 s23, s11, s20
	s_xor_b64 s[22:23], s[22:23], s[20:21]
	s_delay_alu instid0(SALU_CYCLE_1) | instskip(SKIP_3) | instid1(VALU_DEP_1)
	v_cvt_f32_u32_e32 v1, s22
	v_cvt_f32_u32_e32 v2, s23
	s_sub_u32 s25, 0, s22
	s_subb_u32 s26, 0, s23
	v_fmamk_f32 v1, v2, 0x4f800000, v1
	s_delay_alu instid0(VALU_DEP_1) | instskip(SKIP_2) | instid1(VALU_DEP_1)
	v_rcp_f32_e32 v1, v1
	s_waitcnt_depctr 0xfff
	v_mul_f32_e32 v1, 0x5f7ffffc, v1
	v_mul_f32_e32 v2, 0x2f800000, v1
	s_delay_alu instid0(VALU_DEP_1) | instskip(NEXT) | instid1(VALU_DEP_1)
	v_trunc_f32_e32 v2, v2
	v_fmamk_f32 v1, v2, 0xcf800000, v1
	v_cvt_u32_f32_e32 v2, v2
	s_delay_alu instid0(VALU_DEP_2) | instskip(NEXT) | instid1(VALU_DEP_2)
	v_cvt_u32_f32_e32 v1, v1
	v_readfirstlane_b32 s14, v2
	s_delay_alu instid0(VALU_DEP_2) | instskip(NEXT) | instid1(VALU_DEP_2)
	v_readfirstlane_b32 s19, v1
	s_mul_i32 s24, s25, s14
	s_delay_alu instid0(VALU_DEP_1)
	s_mul_hi_u32 s28, s25, s19
	s_mul_i32 s27, s26, s19
	s_add_i32 s24, s28, s24
	s_mul_i32 s29, s25, s19
	s_add_i32 s24, s24, s27
	s_mul_hi_u32 s28, s19, s29
	s_mul_hi_u32 s30, s14, s29
	s_mul_i32 s27, s14, s29
	s_mul_hi_u32 s29, s19, s24
	s_mul_i32 s19, s19, s24
	s_mul_hi_u32 s31, s14, s24
	s_add_u32 s19, s28, s19
	s_addc_u32 s28, 0, s29
	s_add_u32 s19, s19, s27
	s_mul_i32 s24, s14, s24
	s_addc_u32 s19, s28, s30
	s_addc_u32 s27, s31, 0
	s_add_u32 s19, s19, s24
	s_addc_u32 s24, 0, s27
	v_add_co_u32 v1, s19, v1, s19
	s_delay_alu instid0(VALU_DEP_1) | instskip(SKIP_1) | instid1(VALU_DEP_1)
	s_cmp_lg_u32 s19, 0
	s_addc_u32 s14, s14, s24
	v_readfirstlane_b32 s19, v1
	s_mul_i32 s27, s25, s14
	s_mov_b32 s24, s17
	s_delay_alu instid0(VALU_DEP_1)
	s_mul_hi_u32 s28, s25, s19
	s_mul_i32 s26, s26, s19
	s_add_i32 s27, s28, s27
	s_mul_i32 s25, s25, s19
	s_add_i32 s27, s27, s26
	s_mul_hi_u32 s28, s14, s25
	s_mul_i32 s29, s14, s25
	s_mul_hi_u32 s25, s19, s25
	s_mul_hi_u32 s30, s19, s27
	s_mul_i32 s19, s19, s27
	s_mul_hi_u32 s26, s14, s27
	s_add_u32 s19, s25, s19
	s_addc_u32 s25, 0, s30
	s_add_u32 s19, s19, s29
	s_mul_i32 s27, s14, s27
	s_addc_u32 s19, s25, s28
	s_addc_u32 s25, s26, 0
	s_add_u32 s19, s19, s27
	s_addc_u32 s26, 0, s25
	v_add_co_u32 v1, s19, v1, s19
	s_delay_alu instid0(VALU_DEP_1)
	s_cmp_lg_u32 s19, 0
	s_mov_b32 s25, s17
	s_addc_u32 s14, s14, s26
	s_add_u32 s26, s16, s17
	v_readfirstlane_b32 s19, v1
	s_addc_u32 s27, s17, s17
	s_delay_alu instid0(SALU_CYCLE_1) | instskip(NEXT) | instid1(SALU_CYCLE_1)
	s_xor_b64 s[26:27], s[26:27], s[24:25]
	s_mul_i32 s29, s26, s14
	s_delay_alu instid0(VALU_DEP_1)
	s_mul_hi_u32 s30, s26, s19
	s_mul_hi_u32 s28, s26, s14
	;; [unrolled: 1-line block ×3, first 2 shown]
	s_mul_i32 s19, s27, s19
	s_add_u32 s29, s30, s29
	s_addc_u32 s28, 0, s28
	s_mul_hi_u32 s31, s27, s14
	s_add_u32 s19, s29, s19
	s_mul_i32 s14, s27, s14
	s_addc_u32 s19, s28, s33
	s_addc_u32 s28, s31, 0
	s_add_u32 s14, s19, s14
	s_addc_u32 s19, 0, s28
	s_mul_i32 s31, s22, s14
	s_mul_hi_u32 s28, s22, s14
	s_mul_i32 s30, s22, s19
	v_sub_co_u32 v1, s26, s26, s31
	s_mul_i32 s29, s23, s14
	s_add_i32 s28, s28, s30
	s_delay_alu instid0(SALU_CYCLE_1) | instskip(NEXT) | instid1(VALU_DEP_1)
	s_add_i32 s28, s28, s29
	v_sub_co_u32 v2, s30, v1, s22
	s_sub_i32 s29, s27, s28
	s_cmp_lg_u32 s26, 0
	s_subb_u32 s29, s29, s23
	s_cmp_lg_u32 s30, 0
	v_readfirstlane_b32 s30, v2
	s_subb_u32 s29, s29, 0
	s_delay_alu instid0(SALU_CYCLE_1) | instskip(SKIP_1) | instid1(VALU_DEP_1)
	s_cmp_ge_u32 s29, s23
	s_cselect_b32 s31, -1, 0
	s_cmp_ge_u32 s30, s22
	s_cselect_b32 s30, -1, 0
	s_cmp_eq_u32 s29, s23
	s_cselect_b32 s29, s30, s31
	s_add_u32 s30, s14, 1
	s_addc_u32 s31, s19, 0
	s_add_u32 s33, s14, 2
	s_addc_u32 s34, s19, 0
	s_cmp_lg_u32 s29, 0
	s_cselect_b32 s29, s33, s30
	s_cselect_b32 s30, s34, s31
	s_cmp_lg_u32 s26, 0
	v_readfirstlane_b32 s26, v1
	s_subb_u32 s27, s27, s28
	s_delay_alu instid0(SALU_CYCLE_1) | instskip(SKIP_1) | instid1(VALU_DEP_1)
	s_cmp_ge_u32 s27, s23
	s_cselect_b32 s28, -1, 0
	s_cmp_ge_u32 s26, s22
	s_cselect_b32 s22, -1, 0
	s_cmp_eq_u32 s27, s23
	s_cselect_b32 s22, s22, s28
	s_delay_alu instid0(SALU_CYCLE_1) | instskip(SKIP_3) | instid1(SALU_CYCLE_1)
	s_cmp_lg_u32 s22, 0
	s_cselect_b32 s23, s30, s19
	s_cselect_b32 s22, s29, s14
	s_xor_b64 s[20:21], s[24:25], s[20:21]
	s_xor_b64 s[22:23], s[22:23], s[20:21]
	s_delay_alu instid0(SALU_CYCLE_1)
	s_sub_u32 s20, s22, s20
	s_subb_u32 s21, s23, s21
	s_and_not1_b32 vcc_lo, exec_lo, s18
	s_cbranch_vccnz .LBB42_6
.LBB42_5:
	v_cvt_f32_u32_e32 v1, s10
	s_sub_i32 s18, 0, s10
	s_mov_b32 s21, 0
	s_delay_alu instid0(VALU_DEP_1) | instskip(SKIP_2) | instid1(VALU_DEP_1)
	v_rcp_iflag_f32_e32 v1, v1
	s_waitcnt_depctr 0xfff
	v_mul_f32_e32 v1, 0x4f7ffffe, v1
	v_cvt_u32_f32_e32 v1, v1
	s_delay_alu instid0(VALU_DEP_1) | instskip(NEXT) | instid1(VALU_DEP_1)
	v_readfirstlane_b32 s14, v1
	s_mul_i32 s18, s18, s14
	s_delay_alu instid0(SALU_CYCLE_1) | instskip(NEXT) | instid1(SALU_CYCLE_1)
	s_mul_hi_u32 s18, s14, s18
	s_add_i32 s14, s14, s18
	s_delay_alu instid0(SALU_CYCLE_1) | instskip(NEXT) | instid1(SALU_CYCLE_1)
	s_mul_hi_u32 s14, s16, s14
	s_mul_i32 s18, s14, s10
	s_add_i32 s19, s14, 1
	s_sub_i32 s18, s16, s18
	s_delay_alu instid0(SALU_CYCLE_1)
	s_sub_i32 s20, s18, s10
	s_cmp_ge_u32 s18, s10
	s_cselect_b32 s14, s19, s14
	s_cselect_b32 s18, s20, s18
	s_add_i32 s19, s14, 1
	s_cmp_ge_u32 s18, s10
	s_cselect_b32 s20, s19, s14
.LBB42_6:
	s_delay_alu instid0(SALU_CYCLE_1)
	s_mul_i32 s11, s20, s11
	s_mul_hi_u32 s14, s20, s10
	s_mul_i32 s9, s2, s9
	s_add_i32 s11, s14, s11
	s_mul_i32 s14, s21, s10
	s_mul_i32 s10, s20, s10
	s_add_i32 s11, s11, s14
	s_sub_u32 s14, s16, s10
	s_subb_u32 s16, s17, s11
	s_mul_hi_u32 s17, s2, s8
	s_bfe_i64 s[10:11], s[2:3], 0x200000
	s_add_i32 s3, s17, s9
	s_mul_i32 s9, s11, s8
	s_mul_i32 s2, s2, s8
	s_add_i32 s3, s3, s9
	s_bfe_i64 s[10:11], s[20:21], 0x200000
	s_lshl_b64 s[8:9], s[2:3], 1
	s_clause 0x1
	s_load_b32 s3, s[0:1], 0x48
	s_load_b32 s17, s[0:1], 0x5c
	s_mul_i32 s2, s20, s7
	s_mul_hi_u32 s7, s20, s6
	s_mul_i32 s16, s16, s4
	s_add_i32 s2, s7, s2
	s_mul_i32 s7, s11, s6
	s_mul_i32 s6, s20, s6
	s_add_i32 s7, s2, s7
	s_mul_i32 s2, s14, s5
	s_mul_hi_u32 s5, s14, s4
	s_waitcnt lgkmcnt(0)
	s_add_u32 s10, s12, s8
	s_add_i32 s2, s5, s2
	s_lshl_b64 s[6:7], s[6:7], 1
	s_add_i32 s5, s2, s16
	s_mul_i32 s4, s14, s4
	s_add_u32 s2, s10, s6
	s_lshl_b64 s[4:5], s[4:5], 1
	s_mov_b32 s11, 0
	s_add_u32 s2, s2, s4
	s_delay_alu instid0(SALU_CYCLE_1) | instskip(SKIP_4) | instid1(SALU_CYCLE_1)
	s_and_b32 s10, s2, 7
	s_and_b32 s14, s17, 0xffff
	s_cmp_lg_u64 s[10:11], 0
	s_cselect_b32 s10, -1, 0
	s_and_b32 s11, s3, 3
	s_cmp_lg_u32 s11, 0
	s_cselect_b32 s11, -1, 0
	s_delay_alu instid0(SALU_CYCLE_1) | instskip(NEXT) | instid1(SALU_CYCLE_1)
	s_or_b32 s10, s11, s10
	s_and_b32 vcc_lo, exec_lo, s10
	s_cbranch_vccz .LBB42_20
; %bb.7:
	s_sub_i32 s2, 0, s2
	v_mov_b32_e32 v4, 0
	s_bfe_u32 s2, s2, 0x20001
	s_mov_b32 s11, exec_lo
	s_min_i32 s10, s2, s3
	s_delay_alu instid0(SALU_CYCLE_1)
	v_cmpx_gt_i32_e64 s10, v0
	s_cbranch_execz .LBB42_11
; %bb.8:
	s_add_u32 s2, s4, s8
	s_addc_u32 s16, s5, s9
	v_dual_mov_b32 v4, 0 :: v_dual_lshlrev_b32 v1, 1, v0
	s_add_u32 s2, s2, s6
	s_addc_u32 s16, s16, s7
	s_add_u32 s2, s12, s2
	s_addc_u32 s16, s13, s16
	v_add_co_u32 v1, s2, s2, v1
	s_delay_alu instid0(VALU_DEP_1)
	v_add_co_ci_u32_e64 v2, null, s16, 0, s2
	v_mov_b32_e32 v3, v0
	s_mov_b32 s16, 0
	s_lshl_b32 s17, s14, 1
.LBB42_9:                               ; =>This Inner Loop Header: Depth=1
	global_load_u16 v5, v[1:2], off
	v_add_co_u32 v1, vcc_lo, v1, s17
	v_add_co_ci_u32_e32 v2, vcc_lo, 0, v2, vcc_lo
	s_waitcnt vmcnt(0)
	v_lshlrev_b32_e32 v5, 16, v5
	s_delay_alu instid0(VALU_DEP_1) | instskip(NEXT) | instid1(VALU_DEP_1)
	v_dual_fmac_f32 v4, v5, v5 :: v_dual_add_nc_u32 v3, s14, v3
	v_cmp_le_i32_e64 s2, s10, v3
	s_delay_alu instid0(VALU_DEP_1) | instskip(NEXT) | instid1(SALU_CYCLE_1)
	s_or_b32 s16, s2, s16
	s_and_not1_b32 exec_lo, exec_lo, s16
	s_cbranch_execnz .LBB42_9
; %bb.10:
	s_or_b32 exec_lo, exec_lo, s16
.LBB42_11:
	s_delay_alu instid0(SALU_CYCLE_1)
	s_or_b32 exec_lo, exec_lo, s11
	s_sub_i32 s16, s3, s10
	s_ashr_i32 s11, s10, 31
	s_ashr_i32 s2, s16, 31
	s_mov_b32 s18, exec_lo
	s_lshr_b32 s2, s2, 30
	s_delay_alu instid0(SALU_CYCLE_1) | instskip(NEXT) | instid1(SALU_CYCLE_1)
	s_add_i32 s2, s16, s2
	s_ashr_i32 s17, s2, 2
	s_delay_alu instid0(SALU_CYCLE_1)
	v_cmpx_gt_i32_e64 s17, v0
	s_cbranch_execz .LBB42_15
; %bb.12:
	s_add_u32 s2, s4, s8
	s_addc_u32 s19, s5, s9
	s_add_u32 s2, s2, s6
	s_addc_u32 s19, s19, s7
	s_lshl_b64 s[20:21], s[10:11], 1
	v_lshlrev_b32_e32 v1, 3, v0
	s_add_u32 s20, s12, s20
	s_addc_u32 s21, s13, s21
	s_add_u32 s2, s20, s2
	s_addc_u32 s19, s21, s19
	v_add_co_u32 v1, s2, s2, v1
	s_delay_alu instid0(VALU_DEP_1) | instskip(SKIP_1) | instid1(VALU_DEP_3)
	v_add_co_ci_u32_e64 v2, null, s19, 0, s2
	v_mov_b32_e32 v3, v0
	v_add_co_u32 v1, vcc_lo, v1, 4
	s_delay_alu instid0(VALU_DEP_3)
	v_add_co_ci_u32_e32 v2, vcc_lo, 0, v2, vcc_lo
	s_mov_b32 s19, 0
	s_lshl_b32 s20, s14, 3
	.p2align	6
.LBB42_13:                              ; =>This Inner Loop Header: Depth=1
	global_load_b64 v[5:6], v[1:2], off offset:-4
	v_add_co_u32 v1, vcc_lo, v1, s20
	v_add_co_ci_u32_e32 v2, vcc_lo, 0, v2, vcc_lo
	s_waitcnt vmcnt(0)
	v_lshlrev_b32_e32 v7, 16, v5
	s_delay_alu instid0(VALU_DEP_1) | instskip(NEXT) | instid1(VALU_DEP_1)
	v_dual_fmac_f32 v4, v7, v7 :: v_dual_and_b32 v5, 0xffff0000, v5
	v_dual_fmac_f32 v4, v5, v5 :: v_dual_lshlrev_b32 v7, 16, v6
	s_delay_alu instid0(VALU_DEP_1) | instskip(NEXT) | instid1(VALU_DEP_1)
	v_dual_fmac_f32 v4, v7, v7 :: v_dual_and_b32 v5, 0xffff0000, v6
	v_dual_fmac_f32 v4, v5, v5 :: v_dual_add_nc_u32 v3, s14, v3
	s_delay_alu instid0(VALU_DEP_1) | instskip(NEXT) | instid1(VALU_DEP_1)
	v_cmp_le_i32_e64 s2, s17, v3
	s_or_b32 s19, s2, s19
	s_delay_alu instid0(SALU_CYCLE_1)
	s_and_not1_b32 exec_lo, exec_lo, s19
	s_cbranch_execnz .LBB42_13
; %bb.14:
	s_or_b32 exec_lo, exec_lo, s19
.LBB42_15:
	s_delay_alu instid0(SALU_CYCLE_1) | instskip(SKIP_2) | instid1(VALU_DEP_1)
	s_or_b32 exec_lo, exec_lo, s18
	v_lshl_add_u32 v1, s17, 2, v0
	s_mov_b32 s17, exec_lo
	v_cmpx_gt_i32_e64 s16, v1
	s_cbranch_execz .LBB42_19
; %bb.16:
	v_ashrrev_i32_e32 v2, 31, v1
	s_add_u32 s2, s4, s8
	s_addc_u32 s18, s5, s9
	s_add_u32 s2, s2, s6
	s_addc_u32 s18, s18, s7
	s_lshl_b64 s[10:11], s[10:11], 1
	v_lshlrev_b64 v[2:3], 1, v[1:2]
	s_add_u32 s2, s2, s10
	s_addc_u32 s10, s18, s11
	s_add_u32 s2, s12, s2
	s_addc_u32 s10, s13, s10
	s_lshl_b32 s11, s14, 1
	v_add_co_u32 v2, vcc_lo, s2, v2
	v_add_co_ci_u32_e32 v3, vcc_lo, s10, v3, vcc_lo
	s_mov_b32 s10, 0
.LBB42_17:                              ; =>This Inner Loop Header: Depth=1
	global_load_u16 v5, v[2:3], off
	v_add_nc_u32_e32 v1, s14, v1
	v_add_co_u32 v2, vcc_lo, v2, s11
	v_add_co_ci_u32_e32 v3, vcc_lo, 0, v3, vcc_lo
	s_delay_alu instid0(VALU_DEP_3) | instskip(NEXT) | instid1(VALU_DEP_1)
	v_cmp_le_i32_e64 s2, s16, v1
	s_or_b32 s10, s2, s10
	s_waitcnt vmcnt(0)
	v_lshlrev_b32_e32 v5, 16, v5
	s_delay_alu instid0(VALU_DEP_1)
	v_fmac_f32_e32 v4, v5, v5
	s_and_not1_b32 exec_lo, exec_lo, s10
	s_cbranch_execnz .LBB42_17
; %bb.18:
	s_or_b32 exec_lo, exec_lo, s10
.LBB42_19:
	s_delay_alu instid0(SALU_CYCLE_1)
	s_or_b32 exec_lo, exec_lo, s17
	s_branch .LBB42_26
.LBB42_20:
                                        ; implicit-def: $vgpr4
	s_cbranch_execz .LBB42_26
; %bb.21:
	v_mov_b32_e32 v4, 0
	s_ashr_i32 s11, s3, 2
	s_mov_b32 s10, exec_lo
	v_cmpx_gt_i32_e64 s11, v0
	s_cbranch_execz .LBB42_25
; %bb.22:
	s_add_u32 s2, s4, s8
	s_addc_u32 s16, s5, s9
	v_dual_mov_b32 v4, 0 :: v_dual_lshlrev_b32 v1, 3, v0
	s_add_u32 s2, s2, s6
	s_addc_u32 s16, s16, s7
	s_add_u32 s2, s12, s2
	s_addc_u32 s16, s13, s16
	v_add_co_u32 v1, s2, s2, v1
	s_delay_alu instid0(VALU_DEP_1)
	v_add_co_ci_u32_e64 v2, null, s16, 0, s2
	v_mov_b32_e32 v3, v0
	s_mov_b32 s16, 0
	s_lshl_b32 s17, s14, 3
	.p2align	6
.LBB42_23:                              ; =>This Inner Loop Header: Depth=1
	global_load_b64 v[5:6], v[1:2], off
	v_add_co_u32 v1, vcc_lo, v1, s17
	v_add_co_ci_u32_e32 v2, vcc_lo, 0, v2, vcc_lo
	s_waitcnt vmcnt(0)
	v_and_b32_e32 v8, 0xffff0000, v5
	v_lshlrev_b32_e32 v7, 16, v5
	v_alignbit_b32 v5, v6, v5, 16
	v_and_b32_e32 v6, 0xffff0000, v6
	s_delay_alu instid0(VALU_DEP_2) | instskip(NEXT) | instid1(VALU_DEP_1)
	v_dual_fmac_f32 v4, v7, v7 :: v_dual_and_b32 v5, 0xffff0000, v5
	v_dual_fmac_f32 v4, v8, v8 :: v_dual_add_nc_u32 v3, s14, v3
	s_delay_alu instid0(VALU_DEP_1) | instskip(NEXT) | instid1(VALU_DEP_2)
	v_fmac_f32_e32 v4, v5, v5
	v_cmp_le_i32_e64 s2, s11, v3
	s_delay_alu instid0(VALU_DEP_2) | instskip(NEXT) | instid1(VALU_DEP_2)
	v_fmac_f32_e32 v4, v6, v6
	s_or_b32 s16, s2, s16
	s_delay_alu instid0(SALU_CYCLE_1)
	s_and_not1_b32 exec_lo, exec_lo, s16
	s_cbranch_execnz .LBB42_23
; %bb.24:
	s_or_b32 exec_lo, exec_lo, s16
.LBB42_25:
	s_delay_alu instid0(SALU_CYCLE_1)
	s_or_b32 exec_lo, exec_lo, s10
.LBB42_26:
	v_mbcnt_lo_u32_b32 v1, -1, 0
	v_and_b32_e32 v3, 0x3e0, v0
	s_mov_b32 s2, exec_lo
	s_delay_alu instid0(VALU_DEP_2) | instskip(NEXT) | instid1(VALU_DEP_2)
	v_cmp_ne_u32_e32 vcc_lo, 31, v1
	v_sub_nc_u32_e64 v12, s14, v3 clamp
	v_add_nc_u32_e32 v3, 1, v1
	v_add_co_ci_u32_e32 v2, vcc_lo, 0, v1, vcc_lo
	v_cmp_gt_u32_e32 vcc_lo, 30, v1
	s_delay_alu instid0(VALU_DEP_2)
	v_lshlrev_b32_e32 v2, 2, v2
	v_cndmask_b32_e64 v6, 0, 1, vcc_lo
	v_cmp_lt_u32_e32 vcc_lo, v3, v12
	ds_bpermute_b32 v5, v2, v4
	s_waitcnt lgkmcnt(0)
	v_dual_add_f32 v7, v4, v5 :: v_dual_lshlrev_b32 v6, 1, v6
	s_delay_alu instid0(VALU_DEP_1) | instskip(NEXT) | instid1(VALU_DEP_2)
	v_cndmask_b32_e32 v7, v4, v7, vcc_lo
	v_add_lshl_u32 v5, v6, v1, 2
	v_cmp_gt_u32_e32 vcc_lo, 28, v1
	ds_bpermute_b32 v6, v5, v7
	v_cndmask_b32_e64 v4, 0, 1, vcc_lo
	s_delay_alu instid0(VALU_DEP_1) | instskip(SKIP_1) | instid1(VALU_DEP_1)
	v_lshlrev_b32_e32 v8, 2, v4
	v_add_nc_u32_e32 v4, 2, v1
	v_cmp_lt_u32_e32 vcc_lo, v4, v12
	s_waitcnt lgkmcnt(0)
	v_add_f32_e32 v9, v7, v6
	v_add_lshl_u32 v6, v8, v1, 2
	s_delay_alu instid0(VALU_DEP_2) | instskip(SKIP_2) | instid1(VALU_DEP_1)
	v_cndmask_b32_e32 v9, v7, v9, vcc_lo
	v_cmp_gt_u32_e32 vcc_lo, 24, v1
	v_cndmask_b32_e64 v7, 0, 1, vcc_lo
	v_lshlrev_b32_e32 v10, 3, v7
	ds_bpermute_b32 v8, v6, v9
	v_add_nc_u32_e32 v7, 4, v1
	s_delay_alu instid0(VALU_DEP_1) | instskip(SKIP_3) | instid1(VALU_DEP_2)
	v_cmp_lt_u32_e32 vcc_lo, v7, v12
	s_waitcnt lgkmcnt(0)
	v_add_f32_e32 v11, v9, v8
	v_add_lshl_u32 v8, v10, v1, 2
	v_cndmask_b32_e32 v11, v9, v11, vcc_lo
	v_cmp_gt_u32_e32 vcc_lo, 16, v1
	ds_bpermute_b32 v10, v8, v11
	v_cndmask_b32_e64 v9, 0, 1, vcc_lo
	s_delay_alu instid0(VALU_DEP_1) | instskip(SKIP_1) | instid1(VALU_DEP_1)
	v_lshlrev_b32_e32 v13, 4, v9
	v_add_nc_u32_e32 v9, 8, v1
	v_cmp_lt_u32_e32 vcc_lo, v9, v12
	s_waitcnt lgkmcnt(0)
	v_add_f32_e32 v14, v11, v10
	v_add_lshl_u32 v10, v13, v1, 2
	s_delay_alu instid0(VALU_DEP_2)
	v_cndmask_b32_e32 v13, v11, v14, vcc_lo
	v_add_nc_u32_e32 v11, 16, v1
	ds_bpermute_b32 v14, v10, v13
	v_cmp_lt_u32_e32 vcc_lo, v11, v12
	s_waitcnt lgkmcnt(0)
	v_add_f32_e32 v14, v13, v14
	s_delay_alu instid0(VALU_DEP_1)
	v_cndmask_b32_e32 v12, v13, v14, vcc_lo
	v_cmpx_eq_u32_e32 0, v1
	s_cbranch_execz .LBB42_28
; %bb.27:
	v_lshrrev_b32_e32 v13, 3, v0
	s_delay_alu instid0(VALU_DEP_1)
	v_and_b32_e32 v13, 0x7c, v13
	ds_store_b32 v13, v12
.LBB42_28:
	s_or_b32 exec_lo, exec_lo, s2
	s_delay_alu instid0(SALU_CYCLE_1)
	s_mov_b32 s2, exec_lo
	s_waitcnt lgkmcnt(0)
	s_barrier
	buffer_gl0_inv
	v_cmpx_gt_u32_e32 32, v0
	s_cbranch_execz .LBB42_30
; %bb.29:
	v_lshlrev_b32_e32 v1, 2, v1
	s_add_i32 s10, s14, 31
	s_delay_alu instid0(SALU_CYCLE_1) | instskip(NEXT) | instid1(SALU_CYCLE_1)
	s_lshr_b32 s10, s10, 5
	v_cmp_gt_u32_e32 vcc_lo, s10, v3
	ds_load_b32 v1, v1
	s_waitcnt lgkmcnt(0)
	ds_bpermute_b32 v2, v2, v1
	s_waitcnt lgkmcnt(0)
	v_add_f32_e32 v2, v1, v2
	s_delay_alu instid0(VALU_DEP_1) | instskip(SKIP_4) | instid1(VALU_DEP_1)
	v_cndmask_b32_e32 v1, v1, v2, vcc_lo
	v_cmp_gt_u32_e32 vcc_lo, s10, v4
	ds_bpermute_b32 v2, v5, v1
	s_waitcnt lgkmcnt(0)
	v_add_f32_e32 v2, v1, v2
	v_cndmask_b32_e32 v1, v1, v2, vcc_lo
	v_cmp_gt_u32_e32 vcc_lo, s10, v7
	ds_bpermute_b32 v2, v6, v1
	s_waitcnt lgkmcnt(0)
	v_add_f32_e32 v2, v1, v2
	s_delay_alu instid0(VALU_DEP_1) | instskip(SKIP_4) | instid1(VALU_DEP_1)
	v_cndmask_b32_e32 v1, v1, v2, vcc_lo
	v_cmp_gt_u32_e32 vcc_lo, s10, v9
	ds_bpermute_b32 v2, v8, v1
	s_waitcnt lgkmcnt(0)
	v_add_f32_e32 v2, v1, v2
	v_cndmask_b32_e32 v1, v1, v2, vcc_lo
	v_cmp_gt_u32_e32 vcc_lo, s10, v11
	ds_bpermute_b32 v2, v10, v1
	s_waitcnt lgkmcnt(0)
	v_add_f32_e32 v2, v1, v2
	s_delay_alu instid0(VALU_DEP_1)
	v_cndmask_b32_e32 v12, v1, v2, vcc_lo
.LBB42_30:
	s_or_b32 exec_lo, exec_lo, s2
	s_delay_alu instid0(SALU_CYCLE_1)
	s_mov_b32 s2, exec_lo
	v_cmpx_eq_u32_e32 0, v0
	s_cbranch_execz .LBB42_32
; %bb.31:
	v_cvt_f32_i32_e32 v1, s3
	s_load_b32 s10, s[0:1], 0x40
	s_delay_alu instid0(VALU_DEP_1) | instskip(SKIP_1) | instid1(VALU_DEP_2)
	v_div_scale_f32 v2, null, v1, v1, v12
	v_div_scale_f32 v5, vcc_lo, v12, v1, v12
	v_rcp_f32_e32 v3, v2
	s_waitcnt_depctr 0xfff
	v_fma_f32 v4, -v2, v3, 1.0
	s_delay_alu instid0(VALU_DEP_1) | instskip(NEXT) | instid1(VALU_DEP_1)
	v_fmac_f32_e32 v3, v4, v3
	v_mul_f32_e32 v4, v5, v3
	s_delay_alu instid0(VALU_DEP_1) | instskip(NEXT) | instid1(VALU_DEP_1)
	v_fma_f32 v6, -v2, v4, v5
	v_fmac_f32_e32 v4, v6, v3
	s_delay_alu instid0(VALU_DEP_1) | instskip(NEXT) | instid1(VALU_DEP_1)
	v_fma_f32 v2, -v2, v4, v5
	v_div_fmas_f32 v2, v2, v3, v4
	s_delay_alu instid0(VALU_DEP_1) | instskip(SKIP_1) | instid1(VALU_DEP_1)
	v_div_fixup_f32 v1, v2, v1, v12
	s_waitcnt lgkmcnt(0)
	v_add_f32_e32 v1, s10, v1
	s_delay_alu instid0(VALU_DEP_1) | instskip(SKIP_1) | instid1(VALU_DEP_2)
	v_mul_f32_e32 v2, 0x4b800000, v1
	v_cmp_gt_f32_e32 vcc_lo, 0x800000, v1
	v_cndmask_b32_e32 v1, v1, v2, vcc_lo
	s_delay_alu instid0(VALU_DEP_1) | instskip(SKIP_2) | instid1(VALU_DEP_1)
	v_rsq_f32_e32 v1, v1
	s_waitcnt_depctr 0xfff
	v_mul_f32_e32 v2, 0x45800000, v1
	v_dual_cndmask_b32 v1, v1, v2 :: v_dual_mov_b32 v2, 0
	ds_store_b32 v2, v1 offset:128
.LBB42_32:
	s_or_b32 exec_lo, exec_lo, s2
	s_ashr_i32 s2, s3, 31
	s_waitcnt lgkmcnt(0)
	s_lshr_b32 s2, s2, 30
	s_barrier
	s_add_i32 s2, s3, s2
	buffer_gl0_inv
	s_ashr_i32 s10, s2, 2
	s_mov_b32 s2, exec_lo
	v_cmpx_gt_i32_e64 s10, v0
	s_cbranch_execz .LBB42_35
; %bb.33:
	s_clause 0x1
	s_load_b64 s[16:17], s[0:1], 0x38
	s_load_b64 s[0:1], s[0:1], 0x0
	v_dual_mov_b32 v1, 0 :: v_dual_lshlrev_b32 v6, 3, v0
	s_add_u32 s4, s4, s8
	s_addc_u32 s5, s5, s9
	s_add_u32 s4, s4, s6
	ds_load_b32 v1, v1 offset:128
	s_mul_i32 s2, s15, s3
	s_mov_b32 s3, 0
	s_addc_u32 s5, s5, s7
	s_add_u32 s7, s12, s4
	s_addc_u32 s8, s13, s5
	s_lshl_b64 s[4:5], s[2:3], 1
	s_lshl_b32 s6, s14, 3
	v_add_co_u32 v2, s2, s7, v6
	s_delay_alu instid0(VALU_DEP_1)
	v_add_co_ci_u32_e64 v3, null, s8, 0, s2
	s_waitcnt lgkmcnt(0)
	v_add_co_u32 v4, s2, s16, v6
	s_add_u32 s0, s0, s4
	s_addc_u32 s1, s1, s5
	v_add_co_u32 v6, s0, s0, v6
	v_add_co_ci_u32_e64 v5, null, s17, 0, s2
	v_add_co_ci_u32_e64 v7, null, s1, 0, s0
	s_mov_b64 s[4:5], 0
.LBB42_34:                              ; =>This Inner Loop Header: Depth=1
	s_delay_alu instid0(SALU_CYCLE_1)
	v_add_co_u32 v8, vcc_lo, v2, s4
	v_add_co_ci_u32_e32 v9, vcc_lo, s5, v3, vcc_lo
	v_add_co_u32 v10, vcc_lo, v4, s4
	v_add_co_ci_u32_e32 v11, vcc_lo, s5, v5, vcc_lo
	v_add_co_u32 v12, vcc_lo, v6, s4
	global_load_b64 v[8:9], v[8:9], off
	global_load_b64 v[10:11], v[10:11], off
	s_add_u32 s4, s4, s6
	s_waitcnt vmcnt(1)
	v_lshlrev_b32_e32 v15, 16, v8
	v_add_nc_u32_e32 v0, s14, v0
	s_waitcnt vmcnt(0)
	v_and_b32_e32 v14, 0xffff0000, v10
	v_lshlrev_b32_e32 v16, 16, v10
	v_alignbit_b32 v10, v11, v10, 16
	v_mul_f32_e32 v15, v1, v15
	v_and_b32_e32 v11, 0xffff0000, v11
	s_delay_alu instid0(VALU_DEP_2) | instskip(SKIP_1) | instid1(VALU_DEP_2)
	v_bfe_u32 v17, v15, 16, 1
	v_cmp_o_f32_e64 s2, v15, v15
	v_add3_u32 v17, v15, v17, 0x7fff
	s_delay_alu instid0(VALU_DEP_1) | instskip(NEXT) | instid1(VALU_DEP_1)
	v_and_b32_e32 v17, 0xffff0000, v17
	v_cndmask_b32_e64 v15, 0x7fc00000, v17, s2
	v_and_b32_e32 v10, 0xffff0000, v10
	v_and_b32_e32 v13, 0xffff0000, v8
	v_alignbit_b32 v8, v9, v8, 16
	s_delay_alu instid0(VALU_DEP_1) | instskip(SKIP_1) | instid1(VALU_DEP_2)
	v_dual_mul_f32 v13, v1, v13 :: v_dual_and_b32 v8, 0xffff0000, v8
	v_and_b32_e32 v9, 0xffff0000, v9
	v_bfe_u32 v18, v13, 16, 1
	s_delay_alu instid0(VALU_DEP_3) | instskip(NEXT) | instid1(VALU_DEP_3)
	v_mul_f32_e32 v8, v1, v8
	v_mul_f32_e32 v9, v1, v9
	v_cmp_o_f32_e64 s0, v13, v13
	s_delay_alu instid0(VALU_DEP_4) | instskip(NEXT) | instid1(VALU_DEP_4)
	v_add3_u32 v18, v13, v18, 0x7fff
	v_bfe_u32 v20, v8, 16, 1
	s_delay_alu instid0(VALU_DEP_4) | instskip(SKIP_1) | instid1(VALU_DEP_4)
	v_bfe_u32 v19, v9, 16, 1
	v_cmp_o_f32_e64 s1, v9, v9
	v_and_b32_e32 v18, 0xffff0000, v18
	s_delay_alu instid0(VALU_DEP_4) | instskip(NEXT) | instid1(VALU_DEP_4)
	v_add3_u32 v20, v8, v20, 0x7fff
	v_add3_u32 v19, v9, v19, 0x7fff
	s_delay_alu instid0(VALU_DEP_2) | instskip(NEXT) | instid1(VALU_DEP_2)
	v_and_b32_e32 v9, 0xffff0000, v20
	v_and_b32_e32 v13, 0xffff0000, v19
	s_delay_alu instid0(VALU_DEP_1) | instskip(SKIP_1) | instid1(VALU_DEP_2)
	v_cndmask_b32_e64 v13, 0x7fc00000, v13, s1
	v_cmp_o_f32_e64 s1, v8, v8
	v_mul_f32_e32 v11, v13, v11
	s_delay_alu instid0(VALU_DEP_2) | instskip(SKIP_2) | instid1(VALU_DEP_4)
	v_cndmask_b32_e64 v8, 0x7fc00000, v9, s1
	v_cndmask_b32_e64 v9, 0x7fc00000, v18, s0
	v_mul_f32_e32 v13, v15, v16
	v_cmp_o_f32_e64 s0, v11, v11
	s_delay_alu instid0(VALU_DEP_4) | instskip(SKIP_3) | instid1(VALU_DEP_4)
	v_mul_f32_e32 v8, v8, v10
	v_bfe_u32 v10, v11, 16, 1
	v_mul_f32_e32 v9, v9, v14
	v_bfe_u32 v14, v13, 16, 1
	v_bfe_u32 v15, v8, 16, 1
	s_delay_alu instid0(VALU_DEP_4) | instskip(NEXT) | instid1(VALU_DEP_4)
	v_add3_u32 v10, v11, v10, 0x7fff
	v_bfe_u32 v16, v9, 16, 1
	s_delay_alu instid0(VALU_DEP_4) | instskip(NEXT) | instid1(VALU_DEP_4)
	v_add3_u32 v14, v13, v14, 0x7fff
	v_add3_u32 v15, v8, v15, 0x7fff
	s_delay_alu instid0(VALU_DEP_4) | instskip(NEXT) | instid1(VALU_DEP_4)
	v_and_b32_e32 v10, 0xffff0000, v10
	v_add3_u32 v16, v9, v16, 0x7fff
	s_delay_alu instid0(VALU_DEP_4) | instskip(NEXT) | instid1(VALU_DEP_4)
	v_lshrrev_b32_e32 v14, 16, v14
	v_lshrrev_b32_e32 v15, 16, v15
	s_delay_alu instid0(VALU_DEP_4) | instskip(NEXT) | instid1(VALU_DEP_4)
	v_cndmask_b32_e64 v10, 0x7fc00000, v10, s0
	v_and_b32_e32 v16, 0xffff0000, v16
	v_cmp_o_f32_e64 s0, v8, v8
	v_cmp_o_f32_e64 s1, v9, v9
	s_delay_alu instid0(VALU_DEP_2) | instskip(SKIP_1) | instid1(VALU_DEP_3)
	v_cndmask_b32_e64 v8, 0x7fc0, v15, s0
	v_cmp_o_f32_e64 s0, v13, v13
	v_cndmask_b32_e64 v9, 0x7fc00000, v16, s1
	v_add_co_ci_u32_e32 v13, vcc_lo, s5, v7, vcc_lo
	s_delay_alu instid0(VALU_DEP_4) | instskip(NEXT) | instid1(VALU_DEP_4)
	v_or_b32_e32 v10, v10, v8
	v_cndmask_b32_e64 v11, 0x7fc0, v14, s0
	v_cmp_le_i32_e32 vcc_lo, s10, v0
	s_addc_u32 s5, s5, 0
	s_delay_alu instid0(VALU_DEP_2)
	v_or3_b32 v8, 0, v9, v11
	v_or3_b32 v9, v10, 0, 0
	s_or_b32 s3, vcc_lo, s3
	global_store_b64 v[12:13], v[8:9], off
	s_and_not1_b32 exec_lo, exec_lo, s3
	s_cbranch_execnz .LBB42_34
.LBB42_35:
	s_nop 0
	s_sendmsg sendmsg(MSG_DEALLOC_VGPRS)
	s_endpgm
.LBB42_36:
                                        ; implicit-def: $sgpr2_sgpr3
	s_branch .LBB42_2
.LBB42_37:
                                        ; implicit-def: $sgpr20_sgpr21
	s_branch .LBB42_5
	.section	.rodata,"a",@progbits
	.p2align	6, 0x0
	.amdhsa_kernel _ZN4vllm15rms_norm_kernelIN3c108BFloat16ELi4ELi4EEEvPT_PKS3_lllllS6_fii
		.amdhsa_group_segment_fixed_size 132
		.amdhsa_private_segment_fixed_size 0
		.amdhsa_kernarg_size 336
		.amdhsa_user_sgpr_count 15
		.amdhsa_user_sgpr_dispatch_ptr 0
		.amdhsa_user_sgpr_queue_ptr 0
		.amdhsa_user_sgpr_kernarg_segment_ptr 1
		.amdhsa_user_sgpr_dispatch_id 0
		.amdhsa_user_sgpr_private_segment_size 0
		.amdhsa_wavefront_size32 1
		.amdhsa_uses_dynamic_stack 0
		.amdhsa_enable_private_segment 0
		.amdhsa_system_sgpr_workgroup_id_x 1
		.amdhsa_system_sgpr_workgroup_id_y 0
		.amdhsa_system_sgpr_workgroup_id_z 0
		.amdhsa_system_sgpr_workgroup_info 0
		.amdhsa_system_vgpr_workitem_id 0
		.amdhsa_next_free_vgpr 21
		.amdhsa_next_free_sgpr 35
		.amdhsa_reserve_vcc 1
		.amdhsa_float_round_mode_32 0
		.amdhsa_float_round_mode_16_64 0
		.amdhsa_float_denorm_mode_32 3
		.amdhsa_float_denorm_mode_16_64 3
		.amdhsa_dx10_clamp 1
		.amdhsa_ieee_mode 1
		.amdhsa_fp16_overflow 0
		.amdhsa_workgroup_processor_mode 1
		.amdhsa_memory_ordered 1
		.amdhsa_forward_progress 0
		.amdhsa_shared_vgpr_count 0
		.amdhsa_exception_fp_ieee_invalid_op 0
		.amdhsa_exception_fp_denorm_src 0
		.amdhsa_exception_fp_ieee_div_zero 0
		.amdhsa_exception_fp_ieee_overflow 0
		.amdhsa_exception_fp_ieee_underflow 0
		.amdhsa_exception_fp_ieee_inexact 0
		.amdhsa_exception_int_div_zero 0
	.end_amdhsa_kernel
	.section	.text._ZN4vllm15rms_norm_kernelIN3c108BFloat16ELi4ELi4EEEvPT_PKS3_lllllS6_fii,"axG",@progbits,_ZN4vllm15rms_norm_kernelIN3c108BFloat16ELi4ELi4EEEvPT_PKS3_lllllS6_fii,comdat
.Lfunc_end42:
	.size	_ZN4vllm15rms_norm_kernelIN3c108BFloat16ELi4ELi4EEEvPT_PKS3_lllllS6_fii, .Lfunc_end42-_ZN4vllm15rms_norm_kernelIN3c108BFloat16ELi4ELi4EEEvPT_PKS3_lllllS6_fii
                                        ; -- End function
	.section	.AMDGPU.csdata,"",@progbits
; Kernel info:
; codeLenInByte = 4220
; NumSgprs: 37
; NumVgprs: 21
; ScratchSize: 0
; MemoryBound: 0
; FloatMode: 240
; IeeeMode: 1
; LDSByteSize: 132 bytes/workgroup (compile time only)
; SGPRBlocks: 4
; VGPRBlocks: 2
; NumSGPRsForWavesPerEU: 37
; NumVGPRsForWavesPerEU: 21
; Occupancy: 16
; WaveLimiterHint : 0
; COMPUTE_PGM_RSRC2:SCRATCH_EN: 0
; COMPUTE_PGM_RSRC2:USER_SGPR: 15
; COMPUTE_PGM_RSRC2:TRAP_HANDLER: 0
; COMPUTE_PGM_RSRC2:TGID_X_EN: 1
; COMPUTE_PGM_RSRC2:TGID_Y_EN: 0
; COMPUTE_PGM_RSRC2:TGID_Z_EN: 0
; COMPUTE_PGM_RSRC2:TIDIG_COMP_CNT: 0
	.section	.text._ZN4vllm15rms_norm_kernelIN3c108BFloat16ELi2ELi4EEEvPT_PKS3_lllllS6_fii,"axG",@progbits,_ZN4vllm15rms_norm_kernelIN3c108BFloat16ELi2ELi4EEEvPT_PKS3_lllllS6_fii,comdat
	.protected	_ZN4vllm15rms_norm_kernelIN3c108BFloat16ELi2ELi4EEEvPT_PKS3_lllllS6_fii ; -- Begin function _ZN4vllm15rms_norm_kernelIN3c108BFloat16ELi2ELi4EEEvPT_PKS3_lllllS6_fii
	.globl	_ZN4vllm15rms_norm_kernelIN3c108BFloat16ELi2ELi4EEEvPT_PKS3_lllllS6_fii
	.p2align	8
	.type	_ZN4vllm15rms_norm_kernelIN3c108BFloat16ELi2ELi4EEEvPT_PKS3_lllllS6_fii,@function
_ZN4vllm15rms_norm_kernelIN3c108BFloat16ELi2ELi4EEEvPT_PKS3_lllllS6_fii: ; @_ZN4vllm15rms_norm_kernelIN3c108BFloat16ELi2ELi4EEEvPT_PKS3_lllllS6_fii
; %bb.0:
	s_clause 0x1
	s_load_b256 s[4:11], s[0:1], 0x10
	s_load_b64 s[2:3], s[0:1], 0x30
	s_waitcnt lgkmcnt(0)
	s_mul_i32 s12, s2, s11
	s_mul_hi_u32 s13, s2, s10
	s_mul_i32 s3, s3, s10
	s_add_i32 s13, s13, s12
	s_mov_b32 s12, 0
	s_add_i32 s13, s13, s3
	s_mul_i32 s14, s2, s10
	s_cmp_lg_u64 s[12:13], 0
	s_cbranch_scc0 .LBB43_35
; %bb.1:
	s_ashr_i32 s16, s13, 31
	s_delay_alu instid0(SALU_CYCLE_1) | instskip(SKIP_2) | instid1(SALU_CYCLE_1)
	s_add_u32 s2, s14, s16
	s_mov_b32 s17, s16
	s_addc_u32 s3, s13, s16
	s_xor_b64 s[2:3], s[2:3], s[16:17]
	s_delay_alu instid0(SALU_CYCLE_1) | instskip(SKIP_3) | instid1(VALU_DEP_1)
	v_cvt_f32_u32_e32 v1, s2
	v_cvt_f32_u32_e32 v2, s3
	s_sub_u32 s19, 0, s2
	s_subb_u32 s20, 0, s3
	v_fmamk_f32 v1, v2, 0x4f800000, v1
	s_delay_alu instid0(VALU_DEP_1) | instskip(SKIP_2) | instid1(VALU_DEP_1)
	v_rcp_f32_e32 v1, v1
	s_waitcnt_depctr 0xfff
	v_mul_f32_e32 v1, 0x5f7ffffc, v1
	v_mul_f32_e32 v2, 0x2f800000, v1
	s_delay_alu instid0(VALU_DEP_1) | instskip(NEXT) | instid1(VALU_DEP_1)
	v_trunc_f32_e32 v2, v2
	v_fmamk_f32 v1, v2, 0xcf800000, v1
	v_cvt_u32_f32_e32 v2, v2
	s_delay_alu instid0(VALU_DEP_2) | instskip(NEXT) | instid1(VALU_DEP_2)
	v_cvt_u32_f32_e32 v1, v1
	v_readfirstlane_b32 s13, v2
	s_delay_alu instid0(VALU_DEP_2) | instskip(NEXT) | instid1(VALU_DEP_2)
	v_readfirstlane_b32 s18, v1
	s_mul_i32 s21, s19, s13
	s_delay_alu instid0(VALU_DEP_1)
	s_mul_hi_u32 s23, s19, s18
	s_mul_i32 s22, s20, s18
	s_add_i32 s21, s23, s21
	s_mul_i32 s24, s19, s18
	s_add_i32 s21, s21, s22
	s_mul_hi_u32 s23, s18, s24
	s_mul_hi_u32 s25, s13, s24
	s_mul_i32 s22, s13, s24
	s_mul_hi_u32 s24, s18, s21
	s_mul_i32 s18, s18, s21
	s_mul_hi_u32 s26, s13, s21
	s_add_u32 s18, s23, s18
	s_addc_u32 s23, 0, s24
	s_add_u32 s18, s18, s22
	s_mul_i32 s21, s13, s21
	s_addc_u32 s18, s23, s25
	s_addc_u32 s22, s26, 0
	s_add_u32 s18, s18, s21
	s_addc_u32 s21, 0, s22
	v_add_co_u32 v1, s18, v1, s18
	s_delay_alu instid0(VALU_DEP_1) | instskip(SKIP_1) | instid1(VALU_DEP_1)
	s_cmp_lg_u32 s18, 0
	s_addc_u32 s13, s13, s21
	v_readfirstlane_b32 s18, v1
	s_mul_i32 s21, s19, s13
	s_delay_alu instid0(VALU_DEP_1)
	s_mul_hi_u32 s22, s19, s18
	s_mul_i32 s20, s20, s18
	s_add_i32 s21, s22, s21
	s_mul_i32 s19, s19, s18
	s_add_i32 s21, s21, s20
	s_mul_hi_u32 s22, s13, s19
	s_mul_i32 s23, s13, s19
	s_mul_hi_u32 s19, s18, s19
	s_mul_hi_u32 s24, s18, s21
	s_mul_i32 s18, s18, s21
	s_mul_hi_u32 s20, s13, s21
	s_add_u32 s18, s19, s18
	s_addc_u32 s19, 0, s24
	s_add_u32 s18, s18, s23
	s_mul_i32 s21, s13, s21
	s_addc_u32 s18, s19, s22
	s_addc_u32 s19, s20, 0
	s_add_u32 s18, s18, s21
	s_addc_u32 s19, 0, s19
	v_add_co_u32 v1, s18, v1, s18
	s_delay_alu instid0(VALU_DEP_1) | instskip(SKIP_1) | instid1(VALU_DEP_1)
	s_cmp_lg_u32 s18, 0
	s_addc_u32 s13, s13, s19
	v_readfirstlane_b32 s18, v1
	s_mul_i32 s19, s15, s13
	s_mul_hi_u32 s13, s15, s13
	s_delay_alu instid0(VALU_DEP_1) | instskip(NEXT) | instid1(SALU_CYCLE_1)
	s_mul_hi_u32 s18, s15, s18
	s_add_u32 s18, s18, s19
	s_addc_u32 s13, 0, s13
	s_add_u32 s18, s18, 0
	s_addc_u32 s13, s13, 0
	s_addc_u32 s18, 0, 0
	s_add_u32 s13, s13, 0
	s_addc_u32 s18, 0, s18
	s_mul_hi_u32 s19, s2, s13
	s_mul_i32 s21, s2, s18
	s_mul_i32 s22, s2, s13
	s_add_i32 s19, s19, s21
	v_sub_co_u32 v1, s21, s15, s22
	s_mul_i32 s20, s3, s13
	s_delay_alu instid0(SALU_CYCLE_1) | instskip(NEXT) | instid1(VALU_DEP_1)
	s_add_i32 s19, s19, s20
	v_sub_co_u32 v2, s22, v1, s2
	s_sub_i32 s20, 0, s19
	s_cmp_lg_u32 s21, 0
	s_subb_u32 s20, s20, s3
	s_cmp_lg_u32 s22, 0
	v_readfirstlane_b32 s22, v2
	s_subb_u32 s20, s20, 0
	s_delay_alu instid0(SALU_CYCLE_1) | instskip(SKIP_1) | instid1(VALU_DEP_1)
	s_cmp_ge_u32 s20, s3
	s_cselect_b32 s23, -1, 0
	s_cmp_ge_u32 s22, s2
	s_cselect_b32 s22, -1, 0
	s_cmp_eq_u32 s20, s3
	s_cselect_b32 s20, s22, s23
	s_add_u32 s22, s13, 1
	s_addc_u32 s23, s18, 0
	s_add_u32 s24, s13, 2
	s_addc_u32 s25, s18, 0
	s_cmp_lg_u32 s20, 0
	s_cselect_b32 s20, s24, s22
	s_cselect_b32 s22, s25, s23
	s_cmp_lg_u32 s21, 0
	v_readfirstlane_b32 s21, v1
	s_subb_u32 s19, 0, s19
	s_delay_alu instid0(SALU_CYCLE_1) | instskip(SKIP_1) | instid1(VALU_DEP_1)
	s_cmp_ge_u32 s19, s3
	s_cselect_b32 s23, -1, 0
	s_cmp_ge_u32 s21, s2
	s_cselect_b32 s2, -1, 0
	s_cmp_eq_u32 s19, s3
	s_cselect_b32 s2, s2, s23
	s_delay_alu instid0(SALU_CYCLE_1) | instskip(SKIP_2) | instid1(SALU_CYCLE_1)
	s_cmp_lg_u32 s2, 0
	s_cselect_b32 s3, s22, s18
	s_cselect_b32 s2, s20, s13
	s_xor_b64 s[2:3], s[2:3], s[16:17]
	s_delay_alu instid0(SALU_CYCLE_1)
	s_sub_u32 s2, s2, s16
	s_subb_u32 s3, s3, s16
	s_and_not1_b32 vcc_lo, exec_lo, s12
	s_cbranch_vccnz .LBB43_3
.LBB43_2:
	v_cvt_f32_u32_e32 v1, s14
	s_sub_i32 s3, 0, s14
	s_delay_alu instid0(VALU_DEP_1) | instskip(SKIP_2) | instid1(VALU_DEP_1)
	v_rcp_iflag_f32_e32 v1, v1
	s_waitcnt_depctr 0xfff
	v_mul_f32_e32 v1, 0x4f7ffffe, v1
	v_cvt_u32_f32_e32 v1, v1
	s_delay_alu instid0(VALU_DEP_1) | instskip(NEXT) | instid1(VALU_DEP_1)
	v_readfirstlane_b32 s2, v1
	s_mul_i32 s3, s3, s2
	s_delay_alu instid0(SALU_CYCLE_1) | instskip(NEXT) | instid1(SALU_CYCLE_1)
	s_mul_hi_u32 s3, s2, s3
	s_add_i32 s2, s2, s3
	s_delay_alu instid0(SALU_CYCLE_1) | instskip(NEXT) | instid1(SALU_CYCLE_1)
	s_mul_hi_u32 s2, s15, s2
	s_mul_i32 s3, s2, s14
	s_add_i32 s12, s2, 1
	s_sub_i32 s3, s15, s3
	s_delay_alu instid0(SALU_CYCLE_1)
	s_sub_i32 s13, s3, s14
	s_cmp_ge_u32 s3, s14
	s_cselect_b32 s2, s12, s2
	s_cselect_b32 s3, s13, s3
	s_add_i32 s12, s2, 1
	s_cmp_ge_u32 s3, s14
	s_mov_b32 s3, 0
	s_cselect_b32 s2, s12, s2
.LBB43_3:
	s_load_b64 s[12:13], s[0:1], 0x8
	s_mul_i32 s14, s2, s14
	s_delay_alu instid0(SALU_CYCLE_1) | instskip(NEXT) | instid1(SALU_CYCLE_1)
	s_sub_i32 s16, s15, s14
	s_ashr_i32 s17, s16, 31
	s_delay_alu instid0(SALU_CYCLE_1) | instskip(SKIP_1) | instid1(SALU_CYCLE_1)
	s_or_b64 s[18:19], s[16:17], s[10:11]
	s_mov_b32 s18, 0
	s_cmp_lg_u64 s[18:19], 0
	s_cbranch_scc0 .LBB43_36
; %bb.4:
	s_ashr_i32 s20, s11, 31
	s_delay_alu instid0(SALU_CYCLE_1) | instskip(SKIP_2) | instid1(SALU_CYCLE_1)
	s_add_u32 s22, s10, s20
	s_mov_b32 s21, s20
	s_addc_u32 s23, s11, s20
	s_xor_b64 s[22:23], s[22:23], s[20:21]
	s_delay_alu instid0(SALU_CYCLE_1) | instskip(SKIP_3) | instid1(VALU_DEP_1)
	v_cvt_f32_u32_e32 v1, s22
	v_cvt_f32_u32_e32 v2, s23
	s_sub_u32 s25, 0, s22
	s_subb_u32 s26, 0, s23
	v_fmamk_f32 v1, v2, 0x4f800000, v1
	s_delay_alu instid0(VALU_DEP_1) | instskip(SKIP_2) | instid1(VALU_DEP_1)
	v_rcp_f32_e32 v1, v1
	s_waitcnt_depctr 0xfff
	v_mul_f32_e32 v1, 0x5f7ffffc, v1
	v_mul_f32_e32 v2, 0x2f800000, v1
	s_delay_alu instid0(VALU_DEP_1) | instskip(NEXT) | instid1(VALU_DEP_1)
	v_trunc_f32_e32 v2, v2
	v_fmamk_f32 v1, v2, 0xcf800000, v1
	v_cvt_u32_f32_e32 v2, v2
	s_delay_alu instid0(VALU_DEP_2) | instskip(NEXT) | instid1(VALU_DEP_2)
	v_cvt_u32_f32_e32 v1, v1
	v_readfirstlane_b32 s14, v2
	s_delay_alu instid0(VALU_DEP_2) | instskip(NEXT) | instid1(VALU_DEP_2)
	v_readfirstlane_b32 s19, v1
	s_mul_i32 s24, s25, s14
	s_delay_alu instid0(VALU_DEP_1)
	s_mul_hi_u32 s28, s25, s19
	s_mul_i32 s27, s26, s19
	s_add_i32 s24, s28, s24
	s_mul_i32 s29, s25, s19
	s_add_i32 s24, s24, s27
	s_mul_hi_u32 s28, s19, s29
	s_mul_hi_u32 s30, s14, s29
	s_mul_i32 s27, s14, s29
	s_mul_hi_u32 s29, s19, s24
	s_mul_i32 s19, s19, s24
	s_mul_hi_u32 s31, s14, s24
	s_add_u32 s19, s28, s19
	s_addc_u32 s28, 0, s29
	s_add_u32 s19, s19, s27
	s_mul_i32 s24, s14, s24
	s_addc_u32 s19, s28, s30
	s_addc_u32 s27, s31, 0
	s_add_u32 s19, s19, s24
	s_addc_u32 s24, 0, s27
	v_add_co_u32 v1, s19, v1, s19
	s_delay_alu instid0(VALU_DEP_1) | instskip(SKIP_1) | instid1(VALU_DEP_1)
	s_cmp_lg_u32 s19, 0
	s_addc_u32 s14, s14, s24
	v_readfirstlane_b32 s19, v1
	s_mul_i32 s27, s25, s14
	s_mov_b32 s24, s17
	s_delay_alu instid0(VALU_DEP_1)
	s_mul_hi_u32 s28, s25, s19
	s_mul_i32 s26, s26, s19
	s_add_i32 s27, s28, s27
	s_mul_i32 s25, s25, s19
	s_add_i32 s27, s27, s26
	s_mul_hi_u32 s28, s14, s25
	s_mul_i32 s29, s14, s25
	s_mul_hi_u32 s25, s19, s25
	s_mul_hi_u32 s30, s19, s27
	s_mul_i32 s19, s19, s27
	s_mul_hi_u32 s26, s14, s27
	s_add_u32 s19, s25, s19
	s_addc_u32 s25, 0, s30
	s_add_u32 s19, s19, s29
	s_mul_i32 s27, s14, s27
	s_addc_u32 s19, s25, s28
	s_addc_u32 s25, s26, 0
	s_add_u32 s19, s19, s27
	s_addc_u32 s26, 0, s25
	v_add_co_u32 v1, s19, v1, s19
	s_delay_alu instid0(VALU_DEP_1)
	s_cmp_lg_u32 s19, 0
	s_mov_b32 s25, s17
	s_addc_u32 s14, s14, s26
	s_add_u32 s26, s16, s17
	v_readfirstlane_b32 s19, v1
	s_addc_u32 s27, s17, s17
	s_delay_alu instid0(SALU_CYCLE_1) | instskip(NEXT) | instid1(SALU_CYCLE_1)
	s_xor_b64 s[26:27], s[26:27], s[24:25]
	s_mul_i32 s29, s26, s14
	s_delay_alu instid0(VALU_DEP_1)
	s_mul_hi_u32 s30, s26, s19
	s_mul_hi_u32 s28, s26, s14
	;; [unrolled: 1-line block ×3, first 2 shown]
	s_mul_i32 s19, s27, s19
	s_add_u32 s29, s30, s29
	s_addc_u32 s28, 0, s28
	s_mul_hi_u32 s31, s27, s14
	s_add_u32 s19, s29, s19
	s_mul_i32 s14, s27, s14
	s_addc_u32 s19, s28, s33
	s_addc_u32 s28, s31, 0
	s_add_u32 s14, s19, s14
	s_addc_u32 s19, 0, s28
	s_mul_i32 s31, s22, s14
	s_mul_hi_u32 s28, s22, s14
	s_mul_i32 s30, s22, s19
	v_sub_co_u32 v1, s26, s26, s31
	s_mul_i32 s29, s23, s14
	s_add_i32 s28, s28, s30
	s_delay_alu instid0(SALU_CYCLE_1) | instskip(NEXT) | instid1(VALU_DEP_1)
	s_add_i32 s28, s28, s29
	v_sub_co_u32 v2, s30, v1, s22
	s_sub_i32 s29, s27, s28
	s_cmp_lg_u32 s26, 0
	s_subb_u32 s29, s29, s23
	s_cmp_lg_u32 s30, 0
	v_readfirstlane_b32 s30, v2
	s_subb_u32 s29, s29, 0
	s_delay_alu instid0(SALU_CYCLE_1) | instskip(SKIP_1) | instid1(VALU_DEP_1)
	s_cmp_ge_u32 s29, s23
	s_cselect_b32 s31, -1, 0
	s_cmp_ge_u32 s30, s22
	s_cselect_b32 s30, -1, 0
	s_cmp_eq_u32 s29, s23
	s_cselect_b32 s29, s30, s31
	s_add_u32 s30, s14, 1
	s_addc_u32 s31, s19, 0
	s_add_u32 s33, s14, 2
	s_addc_u32 s34, s19, 0
	s_cmp_lg_u32 s29, 0
	s_cselect_b32 s29, s33, s30
	s_cselect_b32 s30, s34, s31
	s_cmp_lg_u32 s26, 0
	v_readfirstlane_b32 s26, v1
	s_subb_u32 s27, s27, s28
	s_delay_alu instid0(SALU_CYCLE_1) | instskip(SKIP_1) | instid1(VALU_DEP_1)
	s_cmp_ge_u32 s27, s23
	s_cselect_b32 s28, -1, 0
	s_cmp_ge_u32 s26, s22
	s_cselect_b32 s22, -1, 0
	s_cmp_eq_u32 s27, s23
	s_cselect_b32 s22, s22, s28
	s_delay_alu instid0(SALU_CYCLE_1) | instskip(SKIP_3) | instid1(SALU_CYCLE_1)
	s_cmp_lg_u32 s22, 0
	s_cselect_b32 s23, s30, s19
	s_cselect_b32 s22, s29, s14
	s_xor_b64 s[20:21], s[24:25], s[20:21]
	s_xor_b64 s[22:23], s[22:23], s[20:21]
	s_delay_alu instid0(SALU_CYCLE_1)
	s_sub_u32 s20, s22, s20
	s_subb_u32 s21, s23, s21
	s_and_not1_b32 vcc_lo, exec_lo, s18
	s_cbranch_vccnz .LBB43_6
.LBB43_5:
	v_cvt_f32_u32_e32 v1, s10
	s_sub_i32 s18, 0, s10
	s_mov_b32 s21, 0
	s_delay_alu instid0(VALU_DEP_1) | instskip(SKIP_2) | instid1(VALU_DEP_1)
	v_rcp_iflag_f32_e32 v1, v1
	s_waitcnt_depctr 0xfff
	v_mul_f32_e32 v1, 0x4f7ffffe, v1
	v_cvt_u32_f32_e32 v1, v1
	s_delay_alu instid0(VALU_DEP_1) | instskip(NEXT) | instid1(VALU_DEP_1)
	v_readfirstlane_b32 s14, v1
	s_mul_i32 s18, s18, s14
	s_delay_alu instid0(SALU_CYCLE_1) | instskip(NEXT) | instid1(SALU_CYCLE_1)
	s_mul_hi_u32 s18, s14, s18
	s_add_i32 s14, s14, s18
	s_delay_alu instid0(SALU_CYCLE_1) | instskip(NEXT) | instid1(SALU_CYCLE_1)
	s_mul_hi_u32 s14, s16, s14
	s_mul_i32 s18, s14, s10
	s_add_i32 s19, s14, 1
	s_sub_i32 s18, s16, s18
	s_delay_alu instid0(SALU_CYCLE_1)
	s_sub_i32 s20, s18, s10
	s_cmp_ge_u32 s18, s10
	s_cselect_b32 s14, s19, s14
	s_cselect_b32 s18, s20, s18
	s_add_i32 s19, s14, 1
	s_cmp_ge_u32 s18, s10
	s_cselect_b32 s20, s19, s14
.LBB43_6:
	s_delay_alu instid0(SALU_CYCLE_1)
	s_mul_i32 s11, s20, s11
	s_mul_hi_u32 s14, s20, s10
	s_mul_i32 s9, s2, s9
	s_add_i32 s11, s14, s11
	s_mul_i32 s14, s21, s10
	s_mul_i32 s10, s20, s10
	s_add_i32 s11, s11, s14
	s_sub_u32 s14, s16, s10
	s_subb_u32 s17, s17, s11
	s_mul_hi_u32 s16, s2, s8
	s_bfe_i64 s[10:11], s[2:3], 0x200000
	s_add_i32 s3, s16, s9
	s_mul_i32 s9, s11, s8
	s_mul_i32 s2, s2, s8
	s_add_i32 s3, s3, s9
	s_load_b32 s18, s[0:1], 0x5c
	s_lshl_b64 s[8:9], s[2:3], 1
	s_mul_i32 s7, s20, s7
	s_waitcnt lgkmcnt(0)
	s_add_u32 s10, s12, s8
	s_mul_hi_u32 s16, s20, s6
	s_addc_u32 s11, s13, s9
	s_bfe_i64 s[2:3], s[20:21], 0x200000
	s_add_i32 s2, s16, s7
	s_load_b32 s16, s[0:1], 0x48
	s_mul_i32 s3, s3, s6
	s_mul_i32 s17, s17, s4
	s_add_i32 s3, s2, s3
	s_mul_i32 s2, s20, s6
	s_delay_alu instid0(SALU_CYCLE_1)
	s_lshl_b64 s[6:7], s[2:3], 1
	s_mul_i32 s2, s14, s5
	s_mul_hi_u32 s3, s14, s4
	s_add_u32 s10, s10, s6
	s_addc_u32 s11, s11, s7
	s_add_i32 s2, s3, s2
	s_delay_alu instid0(SALU_CYCLE_1) | instskip(SKIP_1) | instid1(SALU_CYCLE_1)
	s_add_i32 s3, s2, s17
	s_mul_i32 s2, s14, s4
	s_lshl_b64 s[4:5], s[2:3], 1
	s_delay_alu instid0(SALU_CYCLE_1)
	s_add_u32 s2, s10, s4
	s_addc_u32 s3, s11, s5
	s_and_b32 s10, s2, 3
	s_mov_b32 s11, 0
	s_and_b32 s14, s18, 0xffff
	s_cmp_lg_u64 s[10:11], 0
	s_cselect_b32 s10, -1, 0
	s_waitcnt lgkmcnt(0)
	s_bitcmp1_b32 s16, 0
	s_cselect_b32 s11, -1, 0
	s_delay_alu instid0(SALU_CYCLE_1) | instskip(NEXT) | instid1(SALU_CYCLE_1)
	s_or_b32 s10, s11, s10
	s_and_b32 vcc_lo, exec_lo, s10
	s_cbranch_vccz .LBB43_19
; %bb.7:
	s_sub_i32 s10, 0, s2
	v_mov_b32_e32 v4, 0
	s_bfe_u32 s10, s10, 0x10001
	s_mov_b32 s11, exec_lo
	s_min_i32 s10, s10, s16
	s_delay_alu instid0(SALU_CYCLE_1)
	v_cmpx_gt_i32_e64 s10, v0
	s_cbranch_execz .LBB43_10
; %bb.8:
	v_dual_mov_b32 v1, 0 :: v_dual_mov_b32 v4, 0
	s_lshl_b32 s17, s14, 1
	s_mov_b32 s18, 0
.LBB43_9:                               ; =>This Inner Loop Header: Depth=1
	global_load_u16 v2, v1, s[2:3]
	s_add_i32 s18, s18, s14
	s_add_u32 s2, s2, s17
	s_addc_u32 s3, s3, 0
	s_cmp_ge_i32 s18, s10
	s_waitcnt vmcnt(0)
	v_lshlrev_b32_e32 v2, 16, v2
	s_delay_alu instid0(VALU_DEP_1)
	v_fmac_f32_e32 v4, v2, v2
	s_cbranch_scc0 .LBB43_9
.LBB43_10:
	s_or_b32 exec_lo, exec_lo, s11
	s_sub_i32 s3, s16, s10
	s_ashr_i32 s11, s10, 31
	s_lshr_b32 s2, s3, 31
	s_mov_b32 s18, exec_lo
	s_add_i32 s2, s3, s2
	s_delay_alu instid0(SALU_CYCLE_1) | instskip(NEXT) | instid1(SALU_CYCLE_1)
	s_ashr_i32 s17, s2, 1
	v_cmpx_gt_i32_e64 s17, v0
	s_cbranch_execz .LBB43_14
; %bb.11:
	s_add_u32 s2, s4, s8
	s_addc_u32 s19, s5, s9
	s_add_u32 s2, s2, s6
	s_addc_u32 s19, s19, s7
	s_lshl_b64 s[20:21], s[10:11], 1
	v_lshlrev_b32_e32 v1, 2, v0
	s_add_u32 s20, s12, s20
	s_addc_u32 s21, s13, s21
	s_add_u32 s2, s20, s2
	s_addc_u32 s19, s21, s19
	v_add_co_u32 v1, s2, s2, v1
	s_delay_alu instid0(VALU_DEP_1)
	v_add_co_ci_u32_e64 v2, null, s19, 0, s2
	v_mov_b32_e32 v3, v0
	s_mov_b32 s19, 0
	s_lshl_b32 s20, s14, 2
.LBB43_12:                              ; =>This Inner Loop Header: Depth=1
	global_load_b32 v5, v[1:2], off
	v_add_co_u32 v1, vcc_lo, v1, s20
	v_add_co_ci_u32_e32 v2, vcc_lo, 0, v2, vcc_lo
	s_waitcnt vmcnt(0)
	v_lshlrev_b32_e32 v6, 16, v5
	v_add_nc_u32_e32 v3, s14, v3
	s_delay_alu instid0(VALU_DEP_2) | instskip(NEXT) | instid1(VALU_DEP_2)
	v_dual_fmac_f32 v4, v6, v6 :: v_dual_and_b32 v5, 0xffff0000, v5
	v_cmp_le_i32_e64 s2, s17, v3
	s_delay_alu instid0(VALU_DEP_2) | instskip(NEXT) | instid1(VALU_DEP_2)
	v_fmac_f32_e32 v4, v5, v5
	s_or_b32 s19, s2, s19
	s_delay_alu instid0(SALU_CYCLE_1)
	s_and_not1_b32 exec_lo, exec_lo, s19
	s_cbranch_execnz .LBB43_12
; %bb.13:
	s_or_b32 exec_lo, exec_lo, s19
.LBB43_14:
	s_delay_alu instid0(SALU_CYCLE_1) | instskip(SKIP_2) | instid1(VALU_DEP_1)
	s_or_b32 exec_lo, exec_lo, s18
	v_lshl_add_u32 v1, s17, 1, v0
	s_mov_b32 s17, exec_lo
	v_cmpx_gt_i32_e64 s3, v1
	s_cbranch_execz .LBB43_18
; %bb.15:
	v_ashrrev_i32_e32 v2, 31, v1
	s_add_u32 s2, s4, s8
	s_addc_u32 s18, s5, s9
	s_add_u32 s2, s2, s6
	s_addc_u32 s18, s18, s7
	s_lshl_b64 s[10:11], s[10:11], 1
	v_lshlrev_b64 v[2:3], 1, v[1:2]
	s_add_u32 s2, s2, s10
	s_addc_u32 s10, s18, s11
	s_add_u32 s2, s12, s2
	s_addc_u32 s10, s13, s10
	s_lshl_b32 s11, s14, 1
	v_add_co_u32 v2, vcc_lo, s2, v2
	v_add_co_ci_u32_e32 v3, vcc_lo, s10, v3, vcc_lo
	s_mov_b32 s10, 0
.LBB43_16:                              ; =>This Inner Loop Header: Depth=1
	global_load_u16 v5, v[2:3], off
	v_add_nc_u32_e32 v1, s14, v1
	v_add_co_u32 v2, vcc_lo, v2, s11
	v_add_co_ci_u32_e32 v3, vcc_lo, 0, v3, vcc_lo
	s_delay_alu instid0(VALU_DEP_3) | instskip(NEXT) | instid1(VALU_DEP_1)
	v_cmp_le_i32_e64 s2, s3, v1
	s_or_b32 s10, s2, s10
	s_waitcnt vmcnt(0)
	v_lshlrev_b32_e32 v5, 16, v5
	s_delay_alu instid0(VALU_DEP_1)
	v_fmac_f32_e32 v4, v5, v5
	s_and_not1_b32 exec_lo, exec_lo, s10
	s_cbranch_execnz .LBB43_16
; %bb.17:
	s_or_b32 exec_lo, exec_lo, s10
.LBB43_18:
	s_delay_alu instid0(SALU_CYCLE_1)
	s_or_b32 exec_lo, exec_lo, s17
	s_branch .LBB43_25
.LBB43_19:
                                        ; implicit-def: $vgpr4
	s_cbranch_execz .LBB43_25
; %bb.20:
	v_mov_b32_e32 v4, 0
	s_ashr_i32 s10, s16, 1
	s_mov_b32 s3, exec_lo
	v_cmpx_gt_i32_e64 s10, v0
	s_cbranch_execz .LBB43_24
; %bb.21:
	s_add_u32 s2, s4, s8
	s_addc_u32 s11, s5, s9
	v_dual_mov_b32 v4, 0 :: v_dual_lshlrev_b32 v1, 2, v0
	s_add_u32 s2, s2, s6
	s_addc_u32 s11, s11, s7
	s_add_u32 s2, s12, s2
	s_addc_u32 s11, s13, s11
	v_add_co_u32 v1, s2, s2, v1
	s_delay_alu instid0(VALU_DEP_1)
	v_add_co_ci_u32_e64 v2, null, s11, 0, s2
	v_mov_b32_e32 v3, v0
	s_mov_b32 s11, 0
	s_lshl_b32 s17, s14, 2
.LBB43_22:                              ; =>This Inner Loop Header: Depth=1
	global_load_b32 v5, v[1:2], off
	v_add_co_u32 v1, vcc_lo, v1, s17
	v_add_co_ci_u32_e32 v2, vcc_lo, 0, v2, vcc_lo
	s_waitcnt vmcnt(0)
	v_lshlrev_b32_e32 v6, 16, v5
	v_add_nc_u32_e32 v3, s14, v3
	s_delay_alu instid0(VALU_DEP_2) | instskip(NEXT) | instid1(VALU_DEP_2)
	v_dual_fmac_f32 v4, v6, v6 :: v_dual_and_b32 v5, 0xffff0000, v5
	v_cmp_le_i32_e64 s2, s10, v3
	s_delay_alu instid0(VALU_DEP_2) | instskip(NEXT) | instid1(VALU_DEP_2)
	v_fmac_f32_e32 v4, v5, v5
	s_or_b32 s11, s2, s11
	s_delay_alu instid0(SALU_CYCLE_1)
	s_and_not1_b32 exec_lo, exec_lo, s11
	s_cbranch_execnz .LBB43_22
; %bb.23:
	s_or_b32 exec_lo, exec_lo, s11
.LBB43_24:
	s_delay_alu instid0(SALU_CYCLE_1)
	s_or_b32 exec_lo, exec_lo, s3
.LBB43_25:
	v_mbcnt_lo_u32_b32 v1, -1, 0
	v_and_b32_e32 v3, 0x3e0, v0
	s_mov_b32 s2, exec_lo
	s_delay_alu instid0(VALU_DEP_2) | instskip(NEXT) | instid1(VALU_DEP_2)
	v_cmp_ne_u32_e32 vcc_lo, 31, v1
	v_sub_nc_u32_e64 v12, s14, v3 clamp
	v_add_nc_u32_e32 v3, 1, v1
	v_add_co_ci_u32_e32 v2, vcc_lo, 0, v1, vcc_lo
	v_cmp_gt_u32_e32 vcc_lo, 30, v1
	s_delay_alu instid0(VALU_DEP_2)
	v_lshlrev_b32_e32 v2, 2, v2
	v_cndmask_b32_e64 v6, 0, 1, vcc_lo
	v_cmp_lt_u32_e32 vcc_lo, v3, v12
	ds_bpermute_b32 v5, v2, v4
	s_waitcnt lgkmcnt(0)
	v_dual_add_f32 v7, v4, v5 :: v_dual_lshlrev_b32 v6, 1, v6
	s_delay_alu instid0(VALU_DEP_1) | instskip(NEXT) | instid1(VALU_DEP_2)
	v_cndmask_b32_e32 v7, v4, v7, vcc_lo
	v_add_lshl_u32 v5, v6, v1, 2
	v_cmp_gt_u32_e32 vcc_lo, 28, v1
	ds_bpermute_b32 v6, v5, v7
	v_cndmask_b32_e64 v4, 0, 1, vcc_lo
	s_delay_alu instid0(VALU_DEP_1) | instskip(SKIP_1) | instid1(VALU_DEP_1)
	v_lshlrev_b32_e32 v8, 2, v4
	v_add_nc_u32_e32 v4, 2, v1
	v_cmp_lt_u32_e32 vcc_lo, v4, v12
	s_waitcnt lgkmcnt(0)
	v_add_f32_e32 v9, v7, v6
	v_add_lshl_u32 v6, v8, v1, 2
	s_delay_alu instid0(VALU_DEP_2) | instskip(SKIP_2) | instid1(VALU_DEP_1)
	v_cndmask_b32_e32 v9, v7, v9, vcc_lo
	v_cmp_gt_u32_e32 vcc_lo, 24, v1
	v_cndmask_b32_e64 v7, 0, 1, vcc_lo
	v_lshlrev_b32_e32 v10, 3, v7
	ds_bpermute_b32 v8, v6, v9
	v_add_nc_u32_e32 v7, 4, v1
	s_delay_alu instid0(VALU_DEP_1) | instskip(SKIP_3) | instid1(VALU_DEP_2)
	v_cmp_lt_u32_e32 vcc_lo, v7, v12
	s_waitcnt lgkmcnt(0)
	v_add_f32_e32 v11, v9, v8
	v_add_lshl_u32 v8, v10, v1, 2
	v_cndmask_b32_e32 v11, v9, v11, vcc_lo
	v_cmp_gt_u32_e32 vcc_lo, 16, v1
	ds_bpermute_b32 v10, v8, v11
	v_cndmask_b32_e64 v9, 0, 1, vcc_lo
	s_delay_alu instid0(VALU_DEP_1) | instskip(SKIP_1) | instid1(VALU_DEP_1)
	v_lshlrev_b32_e32 v13, 4, v9
	v_add_nc_u32_e32 v9, 8, v1
	v_cmp_lt_u32_e32 vcc_lo, v9, v12
	s_waitcnt lgkmcnt(0)
	v_add_f32_e32 v14, v11, v10
	v_add_lshl_u32 v10, v13, v1, 2
	s_delay_alu instid0(VALU_DEP_2)
	v_cndmask_b32_e32 v13, v11, v14, vcc_lo
	v_add_nc_u32_e32 v11, 16, v1
	ds_bpermute_b32 v14, v10, v13
	v_cmp_lt_u32_e32 vcc_lo, v11, v12
	s_waitcnt lgkmcnt(0)
	v_add_f32_e32 v14, v13, v14
	s_delay_alu instid0(VALU_DEP_1)
	v_cndmask_b32_e32 v12, v13, v14, vcc_lo
	v_cmpx_eq_u32_e32 0, v1
	s_cbranch_execz .LBB43_27
; %bb.26:
	v_lshrrev_b32_e32 v13, 3, v0
	s_delay_alu instid0(VALU_DEP_1)
	v_and_b32_e32 v13, 0x7c, v13
	ds_store_b32 v13, v12
.LBB43_27:
	s_or_b32 exec_lo, exec_lo, s2
	s_delay_alu instid0(SALU_CYCLE_1)
	s_mov_b32 s2, exec_lo
	s_waitcnt lgkmcnt(0)
	s_barrier
	buffer_gl0_inv
	v_cmpx_gt_u32_e32 32, v0
	s_cbranch_execz .LBB43_29
; %bb.28:
	v_lshlrev_b32_e32 v1, 2, v1
	s_add_i32 s3, s14, 31
	s_delay_alu instid0(SALU_CYCLE_1) | instskip(NEXT) | instid1(SALU_CYCLE_1)
	s_lshr_b32 s3, s3, 5
	v_cmp_gt_u32_e32 vcc_lo, s3, v3
	ds_load_b32 v1, v1
	s_waitcnt lgkmcnt(0)
	ds_bpermute_b32 v2, v2, v1
	s_waitcnt lgkmcnt(0)
	v_add_f32_e32 v2, v1, v2
	s_delay_alu instid0(VALU_DEP_1) | instskip(SKIP_4) | instid1(VALU_DEP_1)
	v_cndmask_b32_e32 v1, v1, v2, vcc_lo
	v_cmp_gt_u32_e32 vcc_lo, s3, v4
	ds_bpermute_b32 v2, v5, v1
	s_waitcnt lgkmcnt(0)
	v_add_f32_e32 v2, v1, v2
	v_cndmask_b32_e32 v1, v1, v2, vcc_lo
	v_cmp_gt_u32_e32 vcc_lo, s3, v7
	ds_bpermute_b32 v2, v6, v1
	s_waitcnt lgkmcnt(0)
	v_add_f32_e32 v2, v1, v2
	s_delay_alu instid0(VALU_DEP_1) | instskip(SKIP_4) | instid1(VALU_DEP_1)
	v_cndmask_b32_e32 v1, v1, v2, vcc_lo
	v_cmp_gt_u32_e32 vcc_lo, s3, v9
	ds_bpermute_b32 v2, v8, v1
	s_waitcnt lgkmcnt(0)
	v_add_f32_e32 v2, v1, v2
	v_cndmask_b32_e32 v1, v1, v2, vcc_lo
	v_cmp_gt_u32_e32 vcc_lo, s3, v11
	ds_bpermute_b32 v2, v10, v1
	s_waitcnt lgkmcnt(0)
	v_add_f32_e32 v2, v1, v2
	s_delay_alu instid0(VALU_DEP_1)
	v_cndmask_b32_e32 v12, v1, v2, vcc_lo
.LBB43_29:
	s_or_b32 exec_lo, exec_lo, s2
	s_delay_alu instid0(SALU_CYCLE_1)
	s_mov_b32 s2, exec_lo
	v_cmpx_eq_u32_e32 0, v0
	s_cbranch_execz .LBB43_31
; %bb.30:
	v_cvt_f32_i32_e32 v1, s16
	s_load_b32 s3, s[0:1], 0x40
	s_delay_alu instid0(VALU_DEP_1) | instskip(SKIP_1) | instid1(VALU_DEP_2)
	v_div_scale_f32 v2, null, v1, v1, v12
	v_div_scale_f32 v5, vcc_lo, v12, v1, v12
	v_rcp_f32_e32 v3, v2
	s_waitcnt_depctr 0xfff
	v_fma_f32 v4, -v2, v3, 1.0
	s_delay_alu instid0(VALU_DEP_1) | instskip(NEXT) | instid1(VALU_DEP_1)
	v_fmac_f32_e32 v3, v4, v3
	v_mul_f32_e32 v4, v5, v3
	s_delay_alu instid0(VALU_DEP_1) | instskip(NEXT) | instid1(VALU_DEP_1)
	v_fma_f32 v6, -v2, v4, v5
	v_fmac_f32_e32 v4, v6, v3
	s_delay_alu instid0(VALU_DEP_1) | instskip(NEXT) | instid1(VALU_DEP_1)
	v_fma_f32 v2, -v2, v4, v5
	v_div_fmas_f32 v2, v2, v3, v4
	s_delay_alu instid0(VALU_DEP_1) | instskip(SKIP_1) | instid1(VALU_DEP_1)
	v_div_fixup_f32 v1, v2, v1, v12
	s_waitcnt lgkmcnt(0)
	v_add_f32_e32 v1, s3, v1
	s_delay_alu instid0(VALU_DEP_1) | instskip(SKIP_1) | instid1(VALU_DEP_2)
	v_mul_f32_e32 v2, 0x4b800000, v1
	v_cmp_gt_f32_e32 vcc_lo, 0x800000, v1
	v_cndmask_b32_e32 v1, v1, v2, vcc_lo
	s_delay_alu instid0(VALU_DEP_1) | instskip(SKIP_2) | instid1(VALU_DEP_1)
	v_rsq_f32_e32 v1, v1
	s_waitcnt_depctr 0xfff
	v_mul_f32_e32 v2, 0x45800000, v1
	v_dual_cndmask_b32 v1, v1, v2 :: v_dual_mov_b32 v2, 0
	ds_store_b32 v2, v1 offset:128
.LBB43_31:
	s_or_b32 exec_lo, exec_lo, s2
	s_lshr_b32 s2, s16, 31
	s_waitcnt lgkmcnt(0)
	s_add_i32 s2, s16, s2
	s_barrier
	s_ashr_i32 s10, s2, 1
	buffer_gl0_inv
	s_mov_b32 s2, exec_lo
	v_cmpx_gt_i32_e64 s10, v0
	s_cbranch_execz .LBB43_34
; %bb.32:
	s_clause 0x1
	s_load_b64 s[2:3], s[0:1], 0x38
	s_load_b64 s[18:19], s[0:1], 0x0
	v_dual_mov_b32 v1, 0 :: v_dual_lshlrev_b32 v6, 2, v0
	s_add_u32 s4, s4, s8
	s_addc_u32 s5, s5, s9
	s_add_u32 s4, s4, s6
	ds_load_b32 v1, v1 offset:128
	s_addc_u32 s5, s5, s7
	s_mul_i32 s0, s15, s16
	s_mov_b32 s1, 0
	s_add_u32 s8, s12, s4
	s_addc_u32 s5, s13, s5
	s_lshl_b64 s[6:7], s[0:1], 1
	v_add_co_u32 v2, s0, s8, v6
	s_delay_alu instid0(VALU_DEP_1) | instskip(SKIP_3) | instid1(VALU_DEP_1)
	v_add_co_ci_u32_e64 v3, null, s5, 0, s0
	s_lshl_b32 s4, s14, 2
	s_waitcnt lgkmcnt(0)
	v_add_co_u32 v4, s0, s2, v6
	v_add_co_ci_u32_e64 v5, null, s3, 0, s0
	s_add_u32 s0, s18, s6
	s_addc_u32 s2, s19, s7
	v_add_co_u32 v6, s0, s0, v6
	s_delay_alu instid0(VALU_DEP_1)
	v_add_co_ci_u32_e64 v7, null, s2, 0, s0
	s_mov_b64 s[2:3], 0
.LBB43_33:                              ; =>This Inner Loop Header: Depth=1
	s_delay_alu instid0(SALU_CYCLE_1)
	v_add_co_u32 v8, vcc_lo, v2, s2
	v_add_co_ci_u32_e32 v9, vcc_lo, s3, v3, vcc_lo
	v_add_nc_u32_e32 v0, s14, v0
	global_load_b32 v10, v[8:9], off
	v_add_co_u32 v8, vcc_lo, v4, s2
	v_add_co_ci_u32_e32 v9, vcc_lo, s3, v5, vcc_lo
	global_load_b32 v8, v[8:9], off
	s_waitcnt vmcnt(0)
	v_and_b32_e32 v13, 0xffff0000, v8
	v_lshlrev_b32_e32 v8, 16, v8
	v_and_b32_e32 v9, 0xffff0000, v10
	v_lshlrev_b32_e32 v10, 16, v10
	s_delay_alu instid0(VALU_DEP_1) | instskip(NEXT) | instid1(VALU_DEP_1)
	v_mul_f32_e32 v10, v1, v10
	v_bfe_u32 v12, v10, 16, 1
	v_cmp_o_f32_e32 vcc_lo, v10, v10
	s_delay_alu instid0(VALU_DEP_2) | instskip(NEXT) | instid1(VALU_DEP_1)
	v_add3_u32 v12, v10, v12, 0x7fff
	v_and_b32_e32 v12, 0xffff0000, v12
	s_delay_alu instid0(VALU_DEP_1) | instskip(NEXT) | instid1(VALU_DEP_1)
	v_cndmask_b32_e32 v10, 0x7fc00000, v12, vcc_lo
	v_dual_mul_f32 v8, v10, v8 :: v_dual_mul_f32 v9, v1, v9
	s_delay_alu instid0(VALU_DEP_1) | instskip(NEXT) | instid1(VALU_DEP_2)
	v_cmp_o_f32_e32 vcc_lo, v8, v8
	v_bfe_u32 v11, v9, 16, 1
	v_cmp_o_f32_e64 s0, v9, v9
	s_delay_alu instid0(VALU_DEP_2) | instskip(NEXT) | instid1(VALU_DEP_1)
	v_add3_u32 v11, v9, v11, 0x7fff
	v_and_b32_e32 v11, 0xffff0000, v11
	s_delay_alu instid0(VALU_DEP_1) | instskip(SKIP_1) | instid1(VALU_DEP_2)
	v_cndmask_b32_e64 v9, 0x7fc00000, v11, s0
	v_bfe_u32 v11, v8, 16, 1
	v_mul_f32_e32 v9, v9, v13
	s_delay_alu instid0(VALU_DEP_2) | instskip(NEXT) | instid1(VALU_DEP_2)
	v_add3_u32 v11, v8, v11, 0x7fff
	v_bfe_u32 v10, v9, 16, 1
	s_delay_alu instid0(VALU_DEP_2) | instskip(SKIP_1) | instid1(VALU_DEP_3)
	v_lshrrev_b32_e32 v11, 16, v11
	v_cmp_o_f32_e64 s0, v9, v9
	v_add3_u32 v10, v9, v10, 0x7fff
	s_delay_alu instid0(VALU_DEP_3) | instskip(SKIP_2) | instid1(VALU_DEP_4)
	v_cndmask_b32_e32 v11, 0x7fc0, v11, vcc_lo
	v_add_co_u32 v8, vcc_lo, v6, s2
	v_add_co_ci_u32_e32 v9, vcc_lo, s3, v7, vcc_lo
	v_and_b32_e32 v10, 0xffff0000, v10
	s_add_u32 s2, s2, s4
	s_addc_u32 s3, s3, 0
	s_delay_alu instid0(VALU_DEP_1) | instskip(SKIP_1) | instid1(VALU_DEP_2)
	v_cndmask_b32_e64 v10, 0x7fc00000, v10, s0
	v_cmp_le_i32_e64 s0, s10, v0
	v_or_b32_e32 v10, v10, v11
	s_delay_alu instid0(VALU_DEP_2)
	s_or_b32 s1, s0, s1
	global_store_b32 v[8:9], v10, off
	s_and_not1_b32 exec_lo, exec_lo, s1
	s_cbranch_execnz .LBB43_33
.LBB43_34:
	s_nop 0
	s_sendmsg sendmsg(MSG_DEALLOC_VGPRS)
	s_endpgm
.LBB43_35:
                                        ; implicit-def: $sgpr2_sgpr3
	s_branch .LBB43_2
.LBB43_36:
                                        ; implicit-def: $sgpr20_sgpr21
	s_branch .LBB43_5
	.section	.rodata,"a",@progbits
	.p2align	6, 0x0
	.amdhsa_kernel _ZN4vllm15rms_norm_kernelIN3c108BFloat16ELi2ELi4EEEvPT_PKS3_lllllS6_fii
		.amdhsa_group_segment_fixed_size 132
		.amdhsa_private_segment_fixed_size 0
		.amdhsa_kernarg_size 336
		.amdhsa_user_sgpr_count 15
		.amdhsa_user_sgpr_dispatch_ptr 0
		.amdhsa_user_sgpr_queue_ptr 0
		.amdhsa_user_sgpr_kernarg_segment_ptr 1
		.amdhsa_user_sgpr_dispatch_id 0
		.amdhsa_user_sgpr_private_segment_size 0
		.amdhsa_wavefront_size32 1
		.amdhsa_uses_dynamic_stack 0
		.amdhsa_enable_private_segment 0
		.amdhsa_system_sgpr_workgroup_id_x 1
		.amdhsa_system_sgpr_workgroup_id_y 0
		.amdhsa_system_sgpr_workgroup_id_z 0
		.amdhsa_system_sgpr_workgroup_info 0
		.amdhsa_system_vgpr_workitem_id 0
		.amdhsa_next_free_vgpr 15
		.amdhsa_next_free_sgpr 35
		.amdhsa_reserve_vcc 1
		.amdhsa_float_round_mode_32 0
		.amdhsa_float_round_mode_16_64 0
		.amdhsa_float_denorm_mode_32 3
		.amdhsa_float_denorm_mode_16_64 3
		.amdhsa_dx10_clamp 1
		.amdhsa_ieee_mode 1
		.amdhsa_fp16_overflow 0
		.amdhsa_workgroup_processor_mode 1
		.amdhsa_memory_ordered 1
		.amdhsa_forward_progress 0
		.amdhsa_shared_vgpr_count 0
		.amdhsa_exception_fp_ieee_invalid_op 0
		.amdhsa_exception_fp_denorm_src 0
		.amdhsa_exception_fp_ieee_div_zero 0
		.amdhsa_exception_fp_ieee_overflow 0
		.amdhsa_exception_fp_ieee_underflow 0
		.amdhsa_exception_fp_ieee_inexact 0
		.amdhsa_exception_int_div_zero 0
	.end_amdhsa_kernel
	.section	.text._ZN4vllm15rms_norm_kernelIN3c108BFloat16ELi2ELi4EEEvPT_PKS3_lllllS6_fii,"axG",@progbits,_ZN4vllm15rms_norm_kernelIN3c108BFloat16ELi2ELi4EEEvPT_PKS3_lllllS6_fii,comdat
.Lfunc_end43:
	.size	_ZN4vllm15rms_norm_kernelIN3c108BFloat16ELi2ELi4EEEvPT_PKS3_lllllS6_fii, .Lfunc_end43-_ZN4vllm15rms_norm_kernelIN3c108BFloat16ELi2ELi4EEEvPT_PKS3_lllllS6_fii
                                        ; -- End function
	.section	.AMDGPU.csdata,"",@progbits
; Kernel info:
; codeLenInByte = 3760
; NumSgprs: 37
; NumVgprs: 15
; ScratchSize: 0
; MemoryBound: 0
; FloatMode: 240
; IeeeMode: 1
; LDSByteSize: 132 bytes/workgroup (compile time only)
; SGPRBlocks: 4
; VGPRBlocks: 1
; NumSGPRsForWavesPerEU: 37
; NumVGPRsForWavesPerEU: 15
; Occupancy: 16
; WaveLimiterHint : 0
; COMPUTE_PGM_RSRC2:SCRATCH_EN: 0
; COMPUTE_PGM_RSRC2:USER_SGPR: 15
; COMPUTE_PGM_RSRC2:TRAP_HANDLER: 0
; COMPUTE_PGM_RSRC2:TGID_X_EN: 1
; COMPUTE_PGM_RSRC2:TGID_Y_EN: 0
; COMPUTE_PGM_RSRC2:TGID_Z_EN: 0
; COMPUTE_PGM_RSRC2:TIDIG_COMP_CNT: 0
	.section	.text._ZN4vllm15rms_norm_kernelIN3c108BFloat16ELi1ELi4EEEvPT_PKS3_lllllS6_fii,"axG",@progbits,_ZN4vllm15rms_norm_kernelIN3c108BFloat16ELi1ELi4EEEvPT_PKS3_lllllS6_fii,comdat
	.protected	_ZN4vllm15rms_norm_kernelIN3c108BFloat16ELi1ELi4EEEvPT_PKS3_lllllS6_fii ; -- Begin function _ZN4vllm15rms_norm_kernelIN3c108BFloat16ELi1ELi4EEEvPT_PKS3_lllllS6_fii
	.globl	_ZN4vllm15rms_norm_kernelIN3c108BFloat16ELi1ELi4EEEvPT_PKS3_lllllS6_fii
	.p2align	8
	.type	_ZN4vllm15rms_norm_kernelIN3c108BFloat16ELi1ELi4EEEvPT_PKS3_lllllS6_fii,@function
_ZN4vllm15rms_norm_kernelIN3c108BFloat16ELi1ELi4EEEvPT_PKS3_lllllS6_fii: ; @_ZN4vllm15rms_norm_kernelIN3c108BFloat16ELi1ELi4EEEvPT_PKS3_lllllS6_fii
; %bb.0:
	s_clause 0x1
	s_load_b256 s[4:11], s[0:1], 0x10
	s_load_b64 s[2:3], s[0:1], 0x30
	s_waitcnt lgkmcnt(0)
	s_mul_i32 s12, s2, s11
	s_mul_hi_u32 s13, s2, s10
	s_mul_i32 s3, s3, s10
	s_add_i32 s13, s13, s12
	s_mov_b32 s12, 0
	s_add_i32 s13, s13, s3
	s_mul_i32 s14, s2, s10
	s_cmp_lg_u64 s[12:13], 0
	s_cbranch_scc0 .LBB44_28
; %bb.1:
	s_ashr_i32 s16, s13, 31
	s_delay_alu instid0(SALU_CYCLE_1) | instskip(SKIP_2) | instid1(SALU_CYCLE_1)
	s_add_u32 s2, s14, s16
	s_mov_b32 s17, s16
	s_addc_u32 s3, s13, s16
	s_xor_b64 s[2:3], s[2:3], s[16:17]
	s_delay_alu instid0(SALU_CYCLE_1) | instskip(SKIP_3) | instid1(VALU_DEP_1)
	v_cvt_f32_u32_e32 v1, s2
	v_cvt_f32_u32_e32 v2, s3
	s_sub_u32 s19, 0, s2
	s_subb_u32 s20, 0, s3
	v_fmamk_f32 v1, v2, 0x4f800000, v1
	s_delay_alu instid0(VALU_DEP_1) | instskip(SKIP_2) | instid1(VALU_DEP_1)
	v_rcp_f32_e32 v1, v1
	s_waitcnt_depctr 0xfff
	v_mul_f32_e32 v1, 0x5f7ffffc, v1
	v_mul_f32_e32 v2, 0x2f800000, v1
	s_delay_alu instid0(VALU_DEP_1) | instskip(NEXT) | instid1(VALU_DEP_1)
	v_trunc_f32_e32 v2, v2
	v_fmamk_f32 v1, v2, 0xcf800000, v1
	v_cvt_u32_f32_e32 v2, v2
	s_delay_alu instid0(VALU_DEP_2) | instskip(NEXT) | instid1(VALU_DEP_2)
	v_cvt_u32_f32_e32 v1, v1
	v_readfirstlane_b32 s13, v2
	s_delay_alu instid0(VALU_DEP_2) | instskip(NEXT) | instid1(VALU_DEP_2)
	v_readfirstlane_b32 s18, v1
	s_mul_i32 s21, s19, s13
	s_delay_alu instid0(VALU_DEP_1)
	s_mul_hi_u32 s23, s19, s18
	s_mul_i32 s22, s20, s18
	s_add_i32 s21, s23, s21
	s_mul_i32 s24, s19, s18
	s_add_i32 s21, s21, s22
	s_mul_hi_u32 s23, s18, s24
	s_mul_hi_u32 s25, s13, s24
	s_mul_i32 s22, s13, s24
	s_mul_hi_u32 s24, s18, s21
	s_mul_i32 s18, s18, s21
	s_mul_hi_u32 s26, s13, s21
	s_add_u32 s18, s23, s18
	s_addc_u32 s23, 0, s24
	s_add_u32 s18, s18, s22
	s_mul_i32 s21, s13, s21
	s_addc_u32 s18, s23, s25
	s_addc_u32 s22, s26, 0
	s_add_u32 s18, s18, s21
	s_addc_u32 s21, 0, s22
	v_add_co_u32 v1, s18, v1, s18
	s_delay_alu instid0(VALU_DEP_1) | instskip(SKIP_1) | instid1(VALU_DEP_1)
	s_cmp_lg_u32 s18, 0
	s_addc_u32 s13, s13, s21
	v_readfirstlane_b32 s18, v1
	s_mul_i32 s21, s19, s13
	s_delay_alu instid0(VALU_DEP_1)
	s_mul_hi_u32 s22, s19, s18
	s_mul_i32 s20, s20, s18
	s_add_i32 s21, s22, s21
	s_mul_i32 s19, s19, s18
	s_add_i32 s21, s21, s20
	s_mul_hi_u32 s22, s13, s19
	s_mul_i32 s23, s13, s19
	s_mul_hi_u32 s19, s18, s19
	s_mul_hi_u32 s24, s18, s21
	s_mul_i32 s18, s18, s21
	s_mul_hi_u32 s20, s13, s21
	s_add_u32 s18, s19, s18
	s_addc_u32 s19, 0, s24
	s_add_u32 s18, s18, s23
	s_mul_i32 s21, s13, s21
	s_addc_u32 s18, s19, s22
	s_addc_u32 s19, s20, 0
	s_add_u32 s18, s18, s21
	s_addc_u32 s19, 0, s19
	v_add_co_u32 v1, s18, v1, s18
	s_delay_alu instid0(VALU_DEP_1) | instskip(SKIP_1) | instid1(VALU_DEP_1)
	s_cmp_lg_u32 s18, 0
	s_addc_u32 s13, s13, s19
	v_readfirstlane_b32 s18, v1
	s_mul_i32 s19, s15, s13
	s_mul_hi_u32 s13, s15, s13
	s_delay_alu instid0(VALU_DEP_1) | instskip(NEXT) | instid1(SALU_CYCLE_1)
	s_mul_hi_u32 s18, s15, s18
	s_add_u32 s18, s18, s19
	s_addc_u32 s13, 0, s13
	s_add_u32 s18, s18, 0
	s_addc_u32 s13, s13, 0
	s_addc_u32 s18, 0, 0
	s_add_u32 s13, s13, 0
	s_addc_u32 s18, 0, s18
	s_mul_hi_u32 s19, s2, s13
	s_mul_i32 s21, s2, s18
	s_mul_i32 s22, s2, s13
	s_add_i32 s19, s19, s21
	v_sub_co_u32 v1, s21, s15, s22
	s_mul_i32 s20, s3, s13
	s_delay_alu instid0(SALU_CYCLE_1) | instskip(NEXT) | instid1(VALU_DEP_1)
	s_add_i32 s19, s19, s20
	v_sub_co_u32 v2, s22, v1, s2
	s_sub_i32 s20, 0, s19
	s_cmp_lg_u32 s21, 0
	s_subb_u32 s20, s20, s3
	s_cmp_lg_u32 s22, 0
	v_readfirstlane_b32 s22, v2
	s_subb_u32 s20, s20, 0
	s_delay_alu instid0(SALU_CYCLE_1) | instskip(SKIP_1) | instid1(VALU_DEP_1)
	s_cmp_ge_u32 s20, s3
	s_cselect_b32 s23, -1, 0
	s_cmp_ge_u32 s22, s2
	s_cselect_b32 s22, -1, 0
	s_cmp_eq_u32 s20, s3
	s_cselect_b32 s20, s22, s23
	s_add_u32 s22, s13, 1
	s_addc_u32 s23, s18, 0
	s_add_u32 s24, s13, 2
	s_addc_u32 s25, s18, 0
	s_cmp_lg_u32 s20, 0
	s_cselect_b32 s20, s24, s22
	s_cselect_b32 s22, s25, s23
	s_cmp_lg_u32 s21, 0
	v_readfirstlane_b32 s21, v1
	s_subb_u32 s19, 0, s19
	s_delay_alu instid0(SALU_CYCLE_1) | instskip(SKIP_1) | instid1(VALU_DEP_1)
	s_cmp_ge_u32 s19, s3
	s_cselect_b32 s23, -1, 0
	s_cmp_ge_u32 s21, s2
	s_cselect_b32 s2, -1, 0
	s_cmp_eq_u32 s19, s3
	s_cselect_b32 s2, s2, s23
	s_delay_alu instid0(SALU_CYCLE_1) | instskip(SKIP_2) | instid1(SALU_CYCLE_1)
	s_cmp_lg_u32 s2, 0
	s_cselect_b32 s3, s22, s18
	s_cselect_b32 s2, s20, s13
	s_xor_b64 s[2:3], s[2:3], s[16:17]
	s_delay_alu instid0(SALU_CYCLE_1)
	s_sub_u32 s2, s2, s16
	s_subb_u32 s3, s3, s16
	s_and_not1_b32 vcc_lo, exec_lo, s12
	s_cbranch_vccnz .LBB44_3
.LBB44_2:
	v_cvt_f32_u32_e32 v1, s14
	s_sub_i32 s3, 0, s14
	s_delay_alu instid0(VALU_DEP_1) | instskip(SKIP_2) | instid1(VALU_DEP_1)
	v_rcp_iflag_f32_e32 v1, v1
	s_waitcnt_depctr 0xfff
	v_mul_f32_e32 v1, 0x4f7ffffe, v1
	v_cvt_u32_f32_e32 v1, v1
	s_delay_alu instid0(VALU_DEP_1) | instskip(NEXT) | instid1(VALU_DEP_1)
	v_readfirstlane_b32 s2, v1
	s_mul_i32 s3, s3, s2
	s_delay_alu instid0(SALU_CYCLE_1) | instskip(NEXT) | instid1(SALU_CYCLE_1)
	s_mul_hi_u32 s3, s2, s3
	s_add_i32 s2, s2, s3
	s_delay_alu instid0(SALU_CYCLE_1) | instskip(NEXT) | instid1(SALU_CYCLE_1)
	s_mul_hi_u32 s2, s15, s2
	s_mul_i32 s3, s2, s14
	s_add_i32 s12, s2, 1
	s_sub_i32 s3, s15, s3
	s_delay_alu instid0(SALU_CYCLE_1)
	s_sub_i32 s13, s3, s14
	s_cmp_ge_u32 s3, s14
	s_cselect_b32 s2, s12, s2
	s_cselect_b32 s3, s13, s3
	s_add_i32 s12, s2, 1
	s_cmp_ge_u32 s3, s14
	s_mov_b32 s3, 0
	s_cselect_b32 s2, s12, s2
.LBB44_3:
	s_load_b64 s[12:13], s[0:1], 0x8
	s_mul_i32 s14, s2, s14
	s_delay_alu instid0(SALU_CYCLE_1) | instskip(NEXT) | instid1(SALU_CYCLE_1)
	s_sub_i32 s16, s15, s14
	s_ashr_i32 s17, s16, 31
	s_delay_alu instid0(SALU_CYCLE_1) | instskip(SKIP_1) | instid1(SALU_CYCLE_1)
	s_or_b64 s[18:19], s[16:17], s[10:11]
	s_mov_b32 s18, 0
	s_cmp_lg_u64 s[18:19], 0
	s_cbranch_scc0 .LBB44_29
; %bb.4:
	s_ashr_i32 s20, s11, 31
	s_delay_alu instid0(SALU_CYCLE_1) | instskip(SKIP_2) | instid1(SALU_CYCLE_1)
	s_add_u32 s22, s10, s20
	s_mov_b32 s21, s20
	s_addc_u32 s23, s11, s20
	s_xor_b64 s[22:23], s[22:23], s[20:21]
	s_delay_alu instid0(SALU_CYCLE_1) | instskip(SKIP_3) | instid1(VALU_DEP_1)
	v_cvt_f32_u32_e32 v1, s22
	v_cvt_f32_u32_e32 v2, s23
	s_sub_u32 s25, 0, s22
	s_subb_u32 s26, 0, s23
	v_fmamk_f32 v1, v2, 0x4f800000, v1
	s_delay_alu instid0(VALU_DEP_1) | instskip(SKIP_2) | instid1(VALU_DEP_1)
	v_rcp_f32_e32 v1, v1
	s_waitcnt_depctr 0xfff
	v_mul_f32_e32 v1, 0x5f7ffffc, v1
	v_mul_f32_e32 v2, 0x2f800000, v1
	s_delay_alu instid0(VALU_DEP_1) | instskip(NEXT) | instid1(VALU_DEP_1)
	v_trunc_f32_e32 v2, v2
	v_fmamk_f32 v1, v2, 0xcf800000, v1
	v_cvt_u32_f32_e32 v2, v2
	s_delay_alu instid0(VALU_DEP_2) | instskip(NEXT) | instid1(VALU_DEP_2)
	v_cvt_u32_f32_e32 v1, v1
	v_readfirstlane_b32 s14, v2
	s_delay_alu instid0(VALU_DEP_2) | instskip(NEXT) | instid1(VALU_DEP_2)
	v_readfirstlane_b32 s19, v1
	s_mul_i32 s24, s25, s14
	s_delay_alu instid0(VALU_DEP_1)
	s_mul_hi_u32 s28, s25, s19
	s_mul_i32 s27, s26, s19
	s_add_i32 s24, s28, s24
	s_mul_i32 s29, s25, s19
	s_add_i32 s24, s24, s27
	s_mul_hi_u32 s28, s19, s29
	s_mul_hi_u32 s30, s14, s29
	s_mul_i32 s27, s14, s29
	s_mul_hi_u32 s29, s19, s24
	s_mul_i32 s19, s19, s24
	s_mul_hi_u32 s31, s14, s24
	s_add_u32 s19, s28, s19
	s_addc_u32 s28, 0, s29
	s_add_u32 s19, s19, s27
	s_mul_i32 s24, s14, s24
	s_addc_u32 s19, s28, s30
	s_addc_u32 s27, s31, 0
	s_add_u32 s19, s19, s24
	s_addc_u32 s24, 0, s27
	v_add_co_u32 v1, s19, v1, s19
	s_delay_alu instid0(VALU_DEP_1) | instskip(SKIP_1) | instid1(VALU_DEP_1)
	s_cmp_lg_u32 s19, 0
	s_addc_u32 s14, s14, s24
	v_readfirstlane_b32 s19, v1
	s_mul_i32 s27, s25, s14
	s_mov_b32 s24, s17
	s_delay_alu instid0(VALU_DEP_1)
	s_mul_hi_u32 s28, s25, s19
	s_mul_i32 s26, s26, s19
	s_add_i32 s27, s28, s27
	s_mul_i32 s25, s25, s19
	s_add_i32 s27, s27, s26
	s_mul_hi_u32 s28, s14, s25
	s_mul_i32 s29, s14, s25
	s_mul_hi_u32 s25, s19, s25
	s_mul_hi_u32 s30, s19, s27
	s_mul_i32 s19, s19, s27
	s_mul_hi_u32 s26, s14, s27
	s_add_u32 s19, s25, s19
	s_addc_u32 s25, 0, s30
	s_add_u32 s19, s19, s29
	s_mul_i32 s27, s14, s27
	s_addc_u32 s19, s25, s28
	s_addc_u32 s25, s26, 0
	s_add_u32 s19, s19, s27
	s_addc_u32 s26, 0, s25
	v_add_co_u32 v1, s19, v1, s19
	s_delay_alu instid0(VALU_DEP_1)
	s_cmp_lg_u32 s19, 0
	s_mov_b32 s25, s17
	s_addc_u32 s14, s14, s26
	s_add_u32 s26, s16, s17
	v_readfirstlane_b32 s19, v1
	s_addc_u32 s27, s17, s17
	s_delay_alu instid0(SALU_CYCLE_1) | instskip(NEXT) | instid1(SALU_CYCLE_1)
	s_xor_b64 s[26:27], s[26:27], s[24:25]
	s_mul_i32 s29, s26, s14
	s_delay_alu instid0(VALU_DEP_1)
	s_mul_hi_u32 s30, s26, s19
	s_mul_hi_u32 s28, s26, s14
	;; [unrolled: 1-line block ×3, first 2 shown]
	s_mul_i32 s19, s27, s19
	s_add_u32 s29, s30, s29
	s_addc_u32 s28, 0, s28
	s_mul_hi_u32 s31, s27, s14
	s_add_u32 s19, s29, s19
	s_mul_i32 s14, s27, s14
	s_addc_u32 s19, s28, s33
	s_addc_u32 s28, s31, 0
	s_add_u32 s14, s19, s14
	s_addc_u32 s19, 0, s28
	s_mul_i32 s31, s22, s14
	s_mul_hi_u32 s28, s22, s14
	s_mul_i32 s30, s22, s19
	v_sub_co_u32 v1, s26, s26, s31
	s_mul_i32 s29, s23, s14
	s_add_i32 s28, s28, s30
	s_delay_alu instid0(SALU_CYCLE_1) | instskip(NEXT) | instid1(VALU_DEP_1)
	s_add_i32 s28, s28, s29
	v_sub_co_u32 v2, s30, v1, s22
	s_sub_i32 s29, s27, s28
	s_cmp_lg_u32 s26, 0
	s_subb_u32 s29, s29, s23
	s_cmp_lg_u32 s30, 0
	v_readfirstlane_b32 s30, v2
	s_subb_u32 s29, s29, 0
	s_delay_alu instid0(SALU_CYCLE_1) | instskip(SKIP_1) | instid1(VALU_DEP_1)
	s_cmp_ge_u32 s29, s23
	s_cselect_b32 s31, -1, 0
	s_cmp_ge_u32 s30, s22
	s_cselect_b32 s30, -1, 0
	s_cmp_eq_u32 s29, s23
	s_cselect_b32 s29, s30, s31
	s_add_u32 s30, s14, 1
	s_addc_u32 s31, s19, 0
	s_add_u32 s33, s14, 2
	s_addc_u32 s34, s19, 0
	s_cmp_lg_u32 s29, 0
	s_cselect_b32 s29, s33, s30
	s_cselect_b32 s30, s34, s31
	s_cmp_lg_u32 s26, 0
	v_readfirstlane_b32 s26, v1
	s_subb_u32 s27, s27, s28
	s_delay_alu instid0(SALU_CYCLE_1) | instskip(SKIP_1) | instid1(VALU_DEP_1)
	s_cmp_ge_u32 s27, s23
	s_cselect_b32 s28, -1, 0
	s_cmp_ge_u32 s26, s22
	s_cselect_b32 s22, -1, 0
	s_cmp_eq_u32 s27, s23
	s_cselect_b32 s22, s22, s28
	s_delay_alu instid0(SALU_CYCLE_1) | instskip(SKIP_3) | instid1(SALU_CYCLE_1)
	s_cmp_lg_u32 s22, 0
	s_cselect_b32 s23, s30, s19
	s_cselect_b32 s22, s29, s14
	s_xor_b64 s[20:21], s[24:25], s[20:21]
	s_xor_b64 s[22:23], s[22:23], s[20:21]
	s_delay_alu instid0(SALU_CYCLE_1)
	s_sub_u32 s20, s22, s20
	s_subb_u32 s21, s23, s21
	s_and_not1_b32 vcc_lo, exec_lo, s18
	s_cbranch_vccnz .LBB44_6
.LBB44_5:
	v_cvt_f32_u32_e32 v1, s10
	s_sub_i32 s18, 0, s10
	s_mov_b32 s21, 0
	s_delay_alu instid0(VALU_DEP_1) | instskip(SKIP_2) | instid1(VALU_DEP_1)
	v_rcp_iflag_f32_e32 v1, v1
	s_waitcnt_depctr 0xfff
	v_mul_f32_e32 v1, 0x4f7ffffe, v1
	v_cvt_u32_f32_e32 v1, v1
	s_delay_alu instid0(VALU_DEP_1) | instskip(NEXT) | instid1(VALU_DEP_1)
	v_readfirstlane_b32 s14, v1
	s_mul_i32 s18, s18, s14
	s_delay_alu instid0(SALU_CYCLE_1) | instskip(NEXT) | instid1(SALU_CYCLE_1)
	s_mul_hi_u32 s18, s14, s18
	s_add_i32 s14, s14, s18
	s_delay_alu instid0(SALU_CYCLE_1) | instskip(NEXT) | instid1(SALU_CYCLE_1)
	s_mul_hi_u32 s14, s16, s14
	s_mul_i32 s18, s14, s10
	s_add_i32 s19, s14, 1
	s_sub_i32 s18, s16, s18
	s_delay_alu instid0(SALU_CYCLE_1)
	s_sub_i32 s20, s18, s10
	s_cmp_ge_u32 s18, s10
	s_cselect_b32 s14, s19, s14
	s_cselect_b32 s18, s20, s18
	s_add_i32 s19, s14, 1
	s_cmp_ge_u32 s18, s10
	s_cselect_b32 s20, s19, s14
.LBB44_6:
	s_delay_alu instid0(SALU_CYCLE_1)
	s_mul_i32 s11, s20, s11
	s_mul_hi_u32 s14, s20, s10
	s_mul_i32 s9, s2, s9
	s_add_i32 s11, s14, s11
	s_mul_i32 s14, s21, s10
	s_mul_i32 s10, s20, s10
	s_add_i32 s11, s11, s14
	s_sub_u32 s14, s16, s10
	s_subb_u32 s16, s17, s11
	s_mul_hi_u32 s17, s2, s8
	s_bfe_i64 s[10:11], s[2:3], 0x200000
	s_add_i32 s3, s17, s9
	s_mul_i32 s9, s11, s8
	s_mul_i32 s2, s2, s8
	s_add_i32 s3, s3, s9
	s_load_b32 s18, s[0:1], 0x5c
	s_lshl_b64 s[8:9], s[2:3], 1
	s_mul_i32 s7, s20, s7
	s_waitcnt lgkmcnt(0)
	s_add_u32 s11, s12, s8
	s_addc_u32 s17, s13, s9
	s_mul_hi_u32 s10, s20, s6
	s_bfe_i64 s[2:3], s[20:21], 0x200000
	s_add_i32 s2, s10, s7
	s_load_b32 s10, s[0:1], 0x48
	s_mul_i32 s3, s3, s6
	s_mul_i32 s16, s16, s4
	s_add_i32 s3, s2, s3
	s_mul_i32 s2, s20, s6
	s_delay_alu instid0(SALU_CYCLE_1)
	s_lshl_b64 s[6:7], s[2:3], 1
	s_mul_i32 s2, s14, s5
	s_mul_hi_u32 s3, s14, s4
	s_add_u32 s11, s11, s6
	s_addc_u32 s17, s17, s7
	s_add_i32 s2, s3, s2
	s_delay_alu instid0(SALU_CYCLE_1) | instskip(SKIP_1) | instid1(SALU_CYCLE_1)
	s_add_i32 s3, s2, s16
	s_mul_i32 s2, s14, s4
	s_lshl_b64 s[4:5], s[2:3], 1
	s_delay_alu instid0(SALU_CYCLE_1) | instskip(SKIP_4) | instid1(SALU_CYCLE_1)
	s_add_u32 s11, s11, s4
	s_addc_u32 s14, s17, s5
	s_and_b32 s16, s18, 0xffff
	s_bitcmp1_b32 s11, 0
	s_cselect_b32 s2, -1, 0
	s_and_b32 vcc_lo, exec_lo, s2
	s_cbranch_vccz .LBB44_12
; %bb.7:
	v_mov_b32_e32 v3, 0
	s_waitcnt lgkmcnt(0)
	s_min_i32 s2, s10, 0
	s_mov_b32 s17, 0
	s_sub_i32 s19, s10, s2
	s_mov_b32 s18, exec_lo
	v_cmpx_gt_i32_e64 s19, v0
	s_cbranch_execz .LBB44_11
; %bb.8:
	s_ashr_i32 s3, s2, 31
	s_add_u32 s20, s4, s8
	s_addc_u32 s21, s5, s9
	s_add_u32 s20, s20, s6
	s_addc_u32 s21, s21, s7
	s_lshl_b64 s[2:3], s[2:3], 1
	v_dual_mov_b32 v4, v0 :: v_dual_lshlrev_b32 v1, 1, v0
	s_add_u32 s2, s20, s2
	s_addc_u32 s3, s21, s3
	s_add_u32 s2, s12, s2
	s_addc_u32 s3, s13, s3
	v_add_co_u32 v1, s2, s2, v1
	s_delay_alu instid0(VALU_DEP_1)
	v_add_co_ci_u32_e64 v2, null, s3, 0, s2
	v_mov_b32_e32 v3, 0
	s_mov_b32 s3, 0
	s_lshl_b32 s20, s16, 1
.LBB44_9:                               ; =>This Inner Loop Header: Depth=1
	global_load_u16 v5, v[1:2], off
	v_add_co_u32 v1, vcc_lo, v1, s20
	v_add_co_ci_u32_e32 v2, vcc_lo, 0, v2, vcc_lo
	s_waitcnt vmcnt(0)
	v_lshlrev_b32_e32 v5, 16, v5
	s_delay_alu instid0(VALU_DEP_1) | instskip(NEXT) | instid1(VALU_DEP_1)
	v_dual_fmac_f32 v3, v5, v5 :: v_dual_add_nc_u32 v4, s16, v4
	v_cmp_le_i32_e64 s2, s19, v4
	s_delay_alu instid0(VALU_DEP_1) | instskip(NEXT) | instid1(SALU_CYCLE_1)
	s_or_b32 s3, s2, s3
	s_and_not1_b32 exec_lo, exec_lo, s3
	s_cbranch_execnz .LBB44_9
; %bb.10:
	s_or_b32 exec_lo, exec_lo, s3
.LBB44_11:
	s_delay_alu instid0(SALU_CYCLE_1)
	s_or_b32 exec_lo, exec_lo, s18
	v_cmp_gt_i32_e64 s2, s10, v0
	s_and_not1_b32 vcc_lo, exec_lo, s17
	s_cbranch_vccz .LBB44_13
	s_branch .LBB44_18
.LBB44_12:
                                        ; implicit-def: $vgpr3
	s_waitcnt lgkmcnt(0)
	v_cmp_gt_i32_e64 s2, s10, v0
.LBB44_13:
	v_mov_b32_e32 v3, 0
	s_delay_alu instid0(VALU_DEP_2)
	s_and_saveexec_b32 s3, s2
	s_cbranch_execz .LBB44_17
; %bb.14:
	s_add_u32 s2, s4, s8
	s_addc_u32 s4, s5, s9
	v_dual_mov_b32 v4, v0 :: v_dual_lshlrev_b32 v1, 1, v0
	s_add_u32 s2, s2, s6
	s_addc_u32 s4, s4, s7
	s_add_u32 s2, s12, s2
	s_addc_u32 s4, s13, s4
	v_add_co_u32 v1, s2, s2, v1
	s_delay_alu instid0(VALU_DEP_1)
	v_add_co_ci_u32_e64 v2, null, s4, 0, s2
	v_mov_b32_e32 v3, 0
	s_mov_b32 s4, 0
	s_lshl_b32 s5, s16, 1
.LBB44_15:                              ; =>This Inner Loop Header: Depth=1
	global_load_u16 v5, v[1:2], off
	v_add_co_u32 v1, vcc_lo, v1, s5
	v_add_co_ci_u32_e32 v2, vcc_lo, 0, v2, vcc_lo
	s_waitcnt vmcnt(0)
	v_lshlrev_b32_e32 v5, 16, v5
	s_delay_alu instid0(VALU_DEP_1) | instskip(NEXT) | instid1(VALU_DEP_1)
	v_dual_fmac_f32 v3, v5, v5 :: v_dual_add_nc_u32 v4, s16, v4
	v_cmp_le_i32_e64 s2, s10, v4
	s_delay_alu instid0(VALU_DEP_1) | instskip(NEXT) | instid1(SALU_CYCLE_1)
	s_or_b32 s4, s2, s4
	s_and_not1_b32 exec_lo, exec_lo, s4
	s_cbranch_execnz .LBB44_15
; %bb.16:
	s_or_b32 exec_lo, exec_lo, s4
.LBB44_17:
	s_delay_alu instid0(SALU_CYCLE_1)
	s_or_b32 exec_lo, exec_lo, s3
.LBB44_18:
	v_mbcnt_lo_u32_b32 v1, -1, 0
	s_mov_b32 s2, exec_lo
	s_delay_alu instid0(VALU_DEP_1) | instskip(SKIP_2) | instid1(VALU_DEP_2)
	v_cmp_ne_u32_e32 vcc_lo, 31, v1
	v_add_co_ci_u32_e32 v2, vcc_lo, 0, v1, vcc_lo
	v_cmp_gt_u32_e32 vcc_lo, 30, v1
	v_lshlrev_b32_e32 v2, 2, v2
	v_cndmask_b32_e64 v6, 0, 1, vcc_lo
	ds_bpermute_b32 v5, v2, v3
	s_waitcnt lgkmcnt(0)
	v_dual_add_f32 v7, v3, v5 :: v_dual_and_b32 v4, 0x3e0, v0
	s_delay_alu instid0(VALU_DEP_1) | instskip(SKIP_1) | instid1(VALU_DEP_1)
	v_sub_nc_u32_e64 v12, s16, v4 clamp
	v_add_nc_u32_e32 v4, 1, v1
	v_cmp_lt_u32_e32 vcc_lo, v4, v12
	s_delay_alu instid0(VALU_DEP_4) | instskip(SKIP_2) | instid1(VALU_DEP_1)
	v_cndmask_b32_e32 v7, v3, v7, vcc_lo
	v_cmp_gt_u32_e32 vcc_lo, 28, v1
	v_cndmask_b32_e64 v3, 0, 1, vcc_lo
	v_lshlrev_b32_e32 v8, 2, v3
	v_add_nc_u32_e32 v3, 2, v1
	s_delay_alu instid0(VALU_DEP_1) | instskip(SKIP_1) | instid1(VALU_DEP_1)
	v_cmp_lt_u32_e32 vcc_lo, v3, v12
	v_lshlrev_b32_e32 v6, 1, v6
	v_add_lshl_u32 v5, v6, v1, 2
	ds_bpermute_b32 v6, v5, v7
	s_waitcnt lgkmcnt(0)
	v_add_f32_e32 v9, v7, v6
	v_add_lshl_u32 v6, v8, v1, 2
	s_delay_alu instid0(VALU_DEP_2) | instskip(SKIP_3) | instid1(VALU_DEP_1)
	v_cndmask_b32_e32 v9, v7, v9, vcc_lo
	v_cmp_gt_u32_e32 vcc_lo, 24, v1
	ds_bpermute_b32 v8, v6, v9
	v_cndmask_b32_e64 v7, 0, 1, vcc_lo
	v_lshlrev_b32_e32 v10, 3, v7
	v_add_nc_u32_e32 v7, 4, v1
	s_delay_alu instid0(VALU_DEP_1) | instskip(SKIP_3) | instid1(VALU_DEP_2)
	v_cmp_lt_u32_e32 vcc_lo, v7, v12
	s_waitcnt lgkmcnt(0)
	v_add_f32_e32 v11, v9, v8
	v_add_lshl_u32 v8, v10, v1, 2
	v_cndmask_b32_e32 v11, v9, v11, vcc_lo
	v_cmp_gt_u32_e32 vcc_lo, 16, v1
	ds_bpermute_b32 v10, v8, v11
	v_cndmask_b32_e64 v9, 0, 1, vcc_lo
	s_delay_alu instid0(VALU_DEP_1) | instskip(SKIP_1) | instid1(VALU_DEP_1)
	v_lshlrev_b32_e32 v13, 4, v9
	v_add_nc_u32_e32 v9, 8, v1
	v_cmp_lt_u32_e32 vcc_lo, v9, v12
	s_waitcnt lgkmcnt(0)
	v_add_f32_e32 v14, v11, v10
	v_add_lshl_u32 v10, v13, v1, 2
	s_delay_alu instid0(VALU_DEP_2)
	v_cndmask_b32_e32 v13, v11, v14, vcc_lo
	v_add_nc_u32_e32 v11, 16, v1
	ds_bpermute_b32 v14, v10, v13
	v_cmp_lt_u32_e32 vcc_lo, v11, v12
	s_waitcnt lgkmcnt(0)
	v_add_f32_e32 v14, v13, v14
	s_delay_alu instid0(VALU_DEP_1)
	v_cndmask_b32_e32 v12, v13, v14, vcc_lo
	v_cmpx_eq_u32_e32 0, v1
	s_cbranch_execz .LBB44_20
; %bb.19:
	v_lshrrev_b32_e32 v13, 3, v0
	s_delay_alu instid0(VALU_DEP_1)
	v_and_b32_e32 v13, 0x7c, v13
	ds_store_b32 v13, v12
.LBB44_20:
	s_or_b32 exec_lo, exec_lo, s2
	s_delay_alu instid0(SALU_CYCLE_1)
	s_mov_b32 s2, exec_lo
	s_waitcnt lgkmcnt(0)
	s_barrier
	buffer_gl0_inv
	v_cmpx_gt_u32_e32 32, v0
	s_cbranch_execz .LBB44_22
; %bb.21:
	v_lshlrev_b32_e32 v1, 2, v1
	s_add_i32 s3, s16, 31
	s_delay_alu instid0(SALU_CYCLE_1) | instskip(NEXT) | instid1(SALU_CYCLE_1)
	s_lshr_b32 s3, s3, 5
	v_cmp_gt_u32_e32 vcc_lo, s3, v4
	ds_load_b32 v1, v1
	s_waitcnt lgkmcnt(0)
	ds_bpermute_b32 v2, v2, v1
	s_waitcnt lgkmcnt(0)
	v_add_f32_e32 v2, v1, v2
	s_delay_alu instid0(VALU_DEP_1) | instskip(SKIP_4) | instid1(VALU_DEP_1)
	v_cndmask_b32_e32 v1, v1, v2, vcc_lo
	v_cmp_gt_u32_e32 vcc_lo, s3, v3
	ds_bpermute_b32 v2, v5, v1
	s_waitcnt lgkmcnt(0)
	v_add_f32_e32 v2, v1, v2
	v_cndmask_b32_e32 v1, v1, v2, vcc_lo
	v_cmp_gt_u32_e32 vcc_lo, s3, v7
	ds_bpermute_b32 v2, v6, v1
	s_waitcnt lgkmcnt(0)
	v_add_f32_e32 v2, v1, v2
	s_delay_alu instid0(VALU_DEP_1) | instskip(SKIP_4) | instid1(VALU_DEP_1)
	v_cndmask_b32_e32 v1, v1, v2, vcc_lo
	v_cmp_gt_u32_e32 vcc_lo, s3, v9
	ds_bpermute_b32 v2, v8, v1
	s_waitcnt lgkmcnt(0)
	v_add_f32_e32 v2, v1, v2
	v_cndmask_b32_e32 v1, v1, v2, vcc_lo
	v_cmp_gt_u32_e32 vcc_lo, s3, v11
	ds_bpermute_b32 v2, v10, v1
	s_waitcnt lgkmcnt(0)
	v_add_f32_e32 v2, v1, v2
	s_delay_alu instid0(VALU_DEP_1)
	v_cndmask_b32_e32 v12, v1, v2, vcc_lo
.LBB44_22:
	s_or_b32 exec_lo, exec_lo, s2
	s_delay_alu instid0(SALU_CYCLE_1)
	s_mov_b32 s2, exec_lo
	v_cmpx_eq_u32_e32 0, v0
	s_cbranch_execz .LBB44_24
; %bb.23:
	v_cvt_f32_i32_e32 v1, s10
	s_load_b32 s3, s[0:1], 0x40
	s_delay_alu instid0(VALU_DEP_1) | instskip(SKIP_1) | instid1(VALU_DEP_2)
	v_div_scale_f32 v2, null, v1, v1, v12
	v_div_scale_f32 v5, vcc_lo, v12, v1, v12
	v_rcp_f32_e32 v3, v2
	s_waitcnt_depctr 0xfff
	v_fma_f32 v4, -v2, v3, 1.0
	s_delay_alu instid0(VALU_DEP_1) | instskip(NEXT) | instid1(VALU_DEP_1)
	v_fmac_f32_e32 v3, v4, v3
	v_mul_f32_e32 v4, v5, v3
	s_delay_alu instid0(VALU_DEP_1) | instskip(NEXT) | instid1(VALU_DEP_1)
	v_fma_f32 v6, -v2, v4, v5
	v_fmac_f32_e32 v4, v6, v3
	s_delay_alu instid0(VALU_DEP_1) | instskip(NEXT) | instid1(VALU_DEP_1)
	v_fma_f32 v2, -v2, v4, v5
	v_div_fmas_f32 v2, v2, v3, v4
	s_delay_alu instid0(VALU_DEP_1) | instskip(SKIP_1) | instid1(VALU_DEP_1)
	v_div_fixup_f32 v1, v2, v1, v12
	s_waitcnt lgkmcnt(0)
	v_add_f32_e32 v1, s3, v1
	s_delay_alu instid0(VALU_DEP_1) | instskip(SKIP_1) | instid1(VALU_DEP_2)
	v_mul_f32_e32 v2, 0x4b800000, v1
	v_cmp_gt_f32_e32 vcc_lo, 0x800000, v1
	v_cndmask_b32_e32 v1, v1, v2, vcc_lo
	s_delay_alu instid0(VALU_DEP_1) | instskip(SKIP_2) | instid1(VALU_DEP_1)
	v_rsq_f32_e32 v1, v1
	s_waitcnt_depctr 0xfff
	v_mul_f32_e32 v2, 0x45800000, v1
	v_dual_cndmask_b32 v1, v1, v2 :: v_dual_mov_b32 v2, 0
	ds_store_b32 v2, v1 offset:128
.LBB44_24:
	s_or_b32 exec_lo, exec_lo, s2
	s_waitcnt lgkmcnt(0)
	s_barrier
	buffer_gl0_inv
	s_mov_b32 s2, exec_lo
	v_cmpx_gt_i32_e64 s10, v0
	s_cbranch_execz .LBB44_27
; %bb.25:
	v_mov_b32_e32 v1, 0
	s_clause 0x1
	s_load_b64 s[4:5], s[0:1], 0x0
	s_load_b64 s[2:3], s[0:1], 0x38
	s_mul_i32 s0, s15, s10
	s_mov_b32 s1, 0
	s_delay_alu instid0(SALU_CYCLE_1)
	s_lshl_b64 s[6:7], s[0:1], 1
	ds_load_b32 v2, v1 offset:128
	s_waitcnt lgkmcnt(0)
	s_add_u32 s4, s4, s6
	s_addc_u32 s5, s5, s7
.LBB44_26:                              ; =>This Inner Loop Header: Depth=1
	v_ashrrev_i32_e32 v1, 31, v0
	s_delay_alu instid0(VALU_DEP_1) | instskip(SKIP_1) | instid1(VALU_DEP_2)
	v_lshlrev_b64 v[3:4], 1, v[0:1]
	v_add_nc_u32_e32 v0, s16, v0
	v_add_co_u32 v5, vcc_lo, s11, v3
	s_delay_alu instid0(VALU_DEP_3)
	v_add_co_ci_u32_e32 v6, vcc_lo, s14, v4, vcc_lo
	global_load_u16 v1, v[5:6], off
	v_add_co_u32 v5, vcc_lo, s2, v3
	v_add_co_ci_u32_e32 v6, vcc_lo, s3, v4, vcc_lo
	global_load_u16 v5, v[5:6], off
	s_waitcnt vmcnt(1)
	v_lshlrev_b32_e32 v1, 16, v1
	s_delay_alu instid0(VALU_DEP_1) | instskip(SKIP_2) | instid1(VALU_DEP_2)
	v_mul_f32_e32 v1, v2, v1
	s_waitcnt vmcnt(0)
	v_lshlrev_b32_e32 v5, 16, v5
	v_bfe_u32 v6, v1, 16, 1
	s_delay_alu instid0(VALU_DEP_1) | instskip(NEXT) | instid1(VALU_DEP_1)
	v_add3_u32 v6, v1, v6, 0x7fff
	v_and_b32_e32 v6, 0xffff0000, v6
	v_cmp_o_f32_e32 vcc_lo, v1, v1
	s_delay_alu instid0(VALU_DEP_2) | instskip(SKIP_1) | instid1(VALU_DEP_2)
	v_cndmask_b32_e32 v1, 0x7fc00000, v6, vcc_lo
	v_cmp_le_i32_e32 vcc_lo, s10, v0
	v_mul_f32_e32 v1, v1, v5
	s_or_b32 s1, vcc_lo, s1
	s_delay_alu instid0(VALU_DEP_1) | instskip(SKIP_1) | instid1(VALU_DEP_2)
	v_bfe_u32 v5, v1, 16, 1
	v_cmp_o_f32_e64 s0, v1, v1
	v_add3_u32 v5, v1, v5, 0x7fff
	s_delay_alu instid0(VALU_DEP_1) | instskip(NEXT) | instid1(VALU_DEP_1)
	v_lshrrev_b32_e32 v5, 16, v5
	v_cndmask_b32_e64 v1, 0x7fc0, v5, s0
	v_add_co_u32 v3, s0, s4, v3
	s_delay_alu instid0(VALU_DEP_1)
	v_add_co_ci_u32_e64 v4, s0, s5, v4, s0
	global_store_b16 v[3:4], v1, off
	s_and_not1_b32 exec_lo, exec_lo, s1
	s_cbranch_execnz .LBB44_26
.LBB44_27:
	s_nop 0
	s_sendmsg sendmsg(MSG_DEALLOC_VGPRS)
	s_endpgm
.LBB44_28:
                                        ; implicit-def: $sgpr2_sgpr3
	s_branch .LBB44_2
.LBB44_29:
                                        ; implicit-def: $sgpr20_sgpr21
	s_branch .LBB44_5
	.section	.rodata,"a",@progbits
	.p2align	6, 0x0
	.amdhsa_kernel _ZN4vllm15rms_norm_kernelIN3c108BFloat16ELi1ELi4EEEvPT_PKS3_lllllS6_fii
		.amdhsa_group_segment_fixed_size 132
		.amdhsa_private_segment_fixed_size 0
		.amdhsa_kernarg_size 336
		.amdhsa_user_sgpr_count 15
		.amdhsa_user_sgpr_dispatch_ptr 0
		.amdhsa_user_sgpr_queue_ptr 0
		.amdhsa_user_sgpr_kernarg_segment_ptr 1
		.amdhsa_user_sgpr_dispatch_id 0
		.amdhsa_user_sgpr_private_segment_size 0
		.amdhsa_wavefront_size32 1
		.amdhsa_uses_dynamic_stack 0
		.amdhsa_enable_private_segment 0
		.amdhsa_system_sgpr_workgroup_id_x 1
		.amdhsa_system_sgpr_workgroup_id_y 0
		.amdhsa_system_sgpr_workgroup_id_z 0
		.amdhsa_system_sgpr_workgroup_info 0
		.amdhsa_system_vgpr_workitem_id 0
		.amdhsa_next_free_vgpr 15
		.amdhsa_next_free_sgpr 35
		.amdhsa_reserve_vcc 1
		.amdhsa_float_round_mode_32 0
		.amdhsa_float_round_mode_16_64 0
		.amdhsa_float_denorm_mode_32 3
		.amdhsa_float_denorm_mode_16_64 3
		.amdhsa_dx10_clamp 1
		.amdhsa_ieee_mode 1
		.amdhsa_fp16_overflow 0
		.amdhsa_workgroup_processor_mode 1
		.amdhsa_memory_ordered 1
		.amdhsa_forward_progress 0
		.amdhsa_shared_vgpr_count 0
		.amdhsa_exception_fp_ieee_invalid_op 0
		.amdhsa_exception_fp_denorm_src 0
		.amdhsa_exception_fp_ieee_div_zero 0
		.amdhsa_exception_fp_ieee_overflow 0
		.amdhsa_exception_fp_ieee_underflow 0
		.amdhsa_exception_fp_ieee_inexact 0
		.amdhsa_exception_int_div_zero 0
	.end_amdhsa_kernel
	.section	.text._ZN4vllm15rms_norm_kernelIN3c108BFloat16ELi1ELi4EEEvPT_PKS3_lllllS6_fii,"axG",@progbits,_ZN4vllm15rms_norm_kernelIN3c108BFloat16ELi1ELi4EEEvPT_PKS3_lllllS6_fii,comdat
.Lfunc_end44:
	.size	_ZN4vllm15rms_norm_kernelIN3c108BFloat16ELi1ELi4EEEvPT_PKS3_lllllS6_fii, .Lfunc_end44-_ZN4vllm15rms_norm_kernelIN3c108BFloat16ELi1ELi4EEEvPT_PKS3_lllllS6_fii
                                        ; -- End function
	.section	.AMDGPU.csdata,"",@progbits
; Kernel info:
; codeLenInByte = 3224
; NumSgprs: 37
; NumVgprs: 15
; ScratchSize: 0
; MemoryBound: 0
; FloatMode: 240
; IeeeMode: 1
; LDSByteSize: 132 bytes/workgroup (compile time only)
; SGPRBlocks: 4
; VGPRBlocks: 1
; NumSGPRsForWavesPerEU: 37
; NumVGPRsForWavesPerEU: 15
; Occupancy: 16
; WaveLimiterHint : 0
; COMPUTE_PGM_RSRC2:SCRATCH_EN: 0
; COMPUTE_PGM_RSRC2:USER_SGPR: 15
; COMPUTE_PGM_RSRC2:TRAP_HANDLER: 0
; COMPUTE_PGM_RSRC2:TGID_X_EN: 1
; COMPUTE_PGM_RSRC2:TGID_Y_EN: 0
; COMPUTE_PGM_RSRC2:TGID_Z_EN: 0
; COMPUTE_PGM_RSRC2:TIDIG_COMP_CNT: 0
	.section	.text._ZN4vllm25fused_add_rms_norm_kernelIfLi8EEENSt9enable_ifIXaagtT0_Li0Esr12_typeConvertIT_EE6existsEvE4typeEPS2_lS5_PKS2_fii,"axG",@progbits,_ZN4vllm25fused_add_rms_norm_kernelIfLi8EEENSt9enable_ifIXaagtT0_Li0Esr12_typeConvertIT_EE6existsEvE4typeEPS2_lS5_PKS2_fii,comdat
	.protected	_ZN4vllm25fused_add_rms_norm_kernelIfLi8EEENSt9enable_ifIXaagtT0_Li0Esr12_typeConvertIT_EE6existsEvE4typeEPS2_lS5_PKS2_fii ; -- Begin function _ZN4vllm25fused_add_rms_norm_kernelIfLi8EEENSt9enable_ifIXaagtT0_Li0Esr12_typeConvertIT_EE6existsEvE4typeEPS2_lS5_PKS2_fii
	.globl	_ZN4vllm25fused_add_rms_norm_kernelIfLi8EEENSt9enable_ifIXaagtT0_Li0Esr12_typeConvertIT_EE6existsEvE4typeEPS2_lS5_PKS2_fii
	.p2align	8
	.type	_ZN4vllm25fused_add_rms_norm_kernelIfLi8EEENSt9enable_ifIXaagtT0_Li0Esr12_typeConvertIT_EE6existsEvE4typeEPS2_lS5_PKS2_fii,@function
_ZN4vllm25fused_add_rms_norm_kernelIfLi8EEENSt9enable_ifIXaagtT0_Li0Esr12_typeConvertIT_EE6existsEvE4typeEPS2_lS5_PKS2_fii: ; @_ZN4vllm25fused_add_rms_norm_kernelIfLi8EEENSt9enable_ifIXaagtT0_Li0Esr12_typeConvertIT_EE6existsEvE4typeEPS2_lS5_PKS2_fii
; %bb.0:
	s_clause 0x2
	s_load_b32 s14, s[0:1], 0x28
	s_load_b128 s[4:7], s[0:1], 0x0
	s_load_b64 s[8:9], s[0:1], 0x10
                                        ; implicit-def: $sgpr13
	s_waitcnt lgkmcnt(0)
	s_ashr_i32 s2, s14, 31
	s_ashr_i32 s3, s7, 31
	s_lshr_b32 s2, s2, 29
	s_lshr_b32 s10, s3, 29
	s_add_i32 s2, s14, s2
	s_mov_b32 s3, 0
	s_ashr_i32 s12, s2, 3
	s_add_u32 s10, s6, s10
	v_cmp_gt_i32_e64 s2, s12, v0
	s_addc_u32 s11, s7, 0
	s_mov_b32 s6, exec_lo
	v_cmpx_le_i32_e64 s12, v0
	s_xor_b32 s6, exec_lo, s6
	s_cbranch_execz .LBB45_2
; %bb.1:
	s_load_b32 s7, s[0:1], 0x3c
	s_waitcnt lgkmcnt(0)
	s_and_b32 s13, s7, 0xffff
.LBB45_2:
	s_or_saveexec_b32 s18, s6
	s_load_b64 s[6:7], s[0:1], 0x18
	v_dual_mov_b32 v3, s3 :: v_dual_lshlrev_b32 v8, 5, v0
	v_mov_b32_e32 v1, s13
	s_ashr_i64 s[10:11], s[10:11], 3
	s_mul_i32 s13, s12, s15
	s_mul_i32 s16, s11, s15
	s_mul_hi_u32 s17, s10, s15
	s_mul_i32 s10, s10, s15
	s_xor_b32 exec_lo, exec_lo, s18
	s_cbranch_execz .LBB45_6
; %bb.3:
	s_load_b32 s3, s[0:1], 0x3c
	s_add_i32 s11, s17, s16
	v_dual_mov_b32 v3, 0 :: v_dual_mov_b32 v4, v0
	s_lshl_b64 s[20:21], s[10:11], 5
	s_waitcnt lgkmcnt(0)
	s_and_b32 s11, s3, 0xffff
	s_add_u32 s3, s4, s20
	s_addc_u32 s15, s5, s21
	v_add_co_u32 v1, s3, s3, v8
	s_delay_alu instid0(VALU_DEP_1) | instskip(SKIP_1) | instid1(VALU_DEP_2)
	v_add_co_ci_u32_e64 v2, null, s15, 0, s3
	s_mov_b32 s15, 0
	v_add_co_u32 v1, vcc_lo, v1, 28
	s_delay_alu instid0(VALU_DEP_2)
	v_add_co_ci_u32_e32 v2, vcc_lo, 0, v2, vcc_lo
	s_lshl_b32 s19, s11, 5
	s_set_inst_prefetch_distance 0x1
	.p2align	6
.LBB45_4:                               ; =>This Inner Loop Header: Depth=1
	v_add_nc_u32_e32 v5, s13, v4
	global_load_b128 v[9:12], v[1:2], off offset:-12
	v_add_nc_u32_e32 v4, s11, v4
	v_ashrrev_i32_e32 v6, 31, v5
	s_delay_alu instid0(VALU_DEP_2) | instskip(NEXT) | instid1(VALU_DEP_2)
	v_cmp_le_i32_e64 s3, s12, v4
	v_lshlrev_b64 v[5:6], 5, v[5:6]
	s_delay_alu instid0(VALU_DEP_2) | instskip(NEXT) | instid1(VALU_DEP_1)
	s_or_b32 s15, s3, s15
	v_add_co_u32 v5, vcc_lo, s8, v5
	s_delay_alu instid0(VALU_DEP_2)
	v_add_co_ci_u32_e32 v6, vcc_lo, s9, v6, vcc_lo
	global_load_b128 v[13:16], v[1:2], off offset:-28
	s_clause 0x1
	global_load_b128 v[17:20], v[5:6], off
	global_load_b128 v[21:24], v[5:6], off offset:16
	v_add_co_u32 v1, vcc_lo, v1, s19
	v_add_co_ci_u32_e32 v2, vcc_lo, 0, v2, vcc_lo
	s_waitcnt vmcnt(1)
	v_dual_add_f32 v14, v14, v18 :: v_dual_add_f32 v13, v13, v17
	v_dual_add_f32 v16, v16, v20 :: v_dual_add_f32 v15, v15, v19
	s_waitcnt vmcnt(0)
	v_dual_add_f32 v10, v10, v22 :: v_dual_add_f32 v9, v9, v21
	v_add_f32_e32 v12, v12, v24
	s_delay_alu instid0(VALU_DEP_3) | instskip(NEXT) | instid1(VALU_DEP_3)
	v_mul_f32_e32 v17, v16, v16
	v_dual_add_f32 v11, v11, v23 :: v_dual_mul_f32 v18, v10, v10
	v_mul_f32_e32 v7, v14, v14
	s_delay_alu instid0(VALU_DEP_4) | instskip(NEXT) | instid1(VALU_DEP_4)
	v_mul_f32_e32 v19, v12, v12
	v_fmac_f32_e32 v17, v15, v15
	s_clause 0x1
	global_store_b128 v[5:6], v[13:16], off
	global_store_b128 v[5:6], v[9:12], off offset:16
	v_fmac_f32_e32 v18, v9, v9
	v_fmac_f32_e32 v7, v13, v13
	;; [unrolled: 1-line block ×3, first 2 shown]
	s_delay_alu instid0(VALU_DEP_2) | instskip(NEXT) | instid1(VALU_DEP_1)
	v_add_f32_e32 v7, v7, v17
	v_add_f32_e32 v7, v7, v18
	s_delay_alu instid0(VALU_DEP_1) | instskip(NEXT) | instid1(VALU_DEP_1)
	v_add_f32_e32 v7, v7, v19
	v_add_f32_e32 v3, v3, v7
	s_and_not1_b32 exec_lo, exec_lo, s15
	s_cbranch_execnz .LBB45_4
; %bb.5:
	s_set_inst_prefetch_distance 0x2
	s_or_b32 exec_lo, exec_lo, s15
	v_mov_b32_e32 v1, s11
.LBB45_6:
	s_or_b32 exec_lo, exec_lo, s18
	v_mbcnt_lo_u32_b32 v2, -1, 0
	v_and_b32_e32 v5, 0x3e0, v0
	s_mov_b32 s3, exec_lo
	s_delay_alu instid0(VALU_DEP_2) | instskip(NEXT) | instid1(VALU_DEP_2)
	v_cmp_ne_u32_e32 vcc_lo, 31, v2
	v_sub_nc_u32_e64 v14, v1, v5 clamp
	v_add_nc_u32_e32 v5, 1, v2
	v_add_co_ci_u32_e32 v4, vcc_lo, 0, v2, vcc_lo
	v_cmp_gt_u32_e32 vcc_lo, 30, v2
	s_delay_alu instid0(VALU_DEP_2)
	v_lshlrev_b32_e32 v4, 2, v4
	v_cndmask_b32_e64 v7, 0, 1, vcc_lo
	v_cmp_lt_u32_e32 vcc_lo, v5, v14
	ds_bpermute_b32 v6, v4, v3
	v_lshlrev_b32_e32 v7, 1, v7
	s_waitcnt lgkmcnt(0)
	v_add_f32_e32 v9, v3, v6
	s_delay_alu instid0(VALU_DEP_2) | instskip(NEXT) | instid1(VALU_DEP_2)
	v_add_lshl_u32 v6, v7, v2, 2
	v_cndmask_b32_e32 v9, v3, v9, vcc_lo
	v_cmp_gt_u32_e32 vcc_lo, 28, v2
	v_cndmask_b32_e64 v3, 0, 1, vcc_lo
	s_delay_alu instid0(VALU_DEP_1) | instskip(SKIP_2) | instid1(VALU_DEP_1)
	v_lshlrev_b32_e32 v10, 2, v3
	ds_bpermute_b32 v7, v6, v9
	v_add_nc_u32_e32 v3, 2, v2
	v_cmp_lt_u32_e32 vcc_lo, v3, v14
	s_waitcnt lgkmcnt(0)
	v_add_f32_e32 v11, v9, v7
	v_add_lshl_u32 v7, v10, v2, 2
	s_delay_alu instid0(VALU_DEP_2) | instskip(SKIP_3) | instid1(VALU_DEP_1)
	v_cndmask_b32_e32 v11, v9, v11, vcc_lo
	v_cmp_gt_u32_e32 vcc_lo, 24, v2
	ds_bpermute_b32 v10, v7, v11
	v_cndmask_b32_e64 v9, 0, 1, vcc_lo
	v_lshlrev_b32_e32 v12, 3, v9
	v_add_nc_u32_e32 v9, 4, v2
	s_delay_alu instid0(VALU_DEP_1) | instskip(SKIP_3) | instid1(VALU_DEP_2)
	v_cmp_lt_u32_e32 vcc_lo, v9, v14
	s_waitcnt lgkmcnt(0)
	v_add_f32_e32 v13, v11, v10
	v_add_lshl_u32 v10, v12, v2, 2
	v_cndmask_b32_e32 v13, v11, v13, vcc_lo
	v_cmp_gt_u32_e32 vcc_lo, 16, v2
	ds_bpermute_b32 v12, v10, v13
	v_cndmask_b32_e64 v11, 0, 1, vcc_lo
	s_delay_alu instid0(VALU_DEP_1) | instskip(SKIP_1) | instid1(VALU_DEP_1)
	v_lshlrev_b32_e32 v15, 4, v11
	v_add_nc_u32_e32 v11, 8, v2
	v_cmp_lt_u32_e32 vcc_lo, v11, v14
	s_waitcnt lgkmcnt(0)
	v_add_f32_e32 v16, v13, v12
	v_add_lshl_u32 v12, v15, v2, 2
	s_delay_alu instid0(VALU_DEP_2)
	v_cndmask_b32_e32 v15, v13, v16, vcc_lo
	v_add_nc_u32_e32 v13, 16, v2
	ds_bpermute_b32 v16, v12, v15
	v_cmp_lt_u32_e32 vcc_lo, v13, v14
	s_waitcnt lgkmcnt(0)
	v_add_f32_e32 v16, v15, v16
	s_delay_alu instid0(VALU_DEP_1)
	v_cndmask_b32_e32 v14, v15, v16, vcc_lo
	v_cmpx_eq_u32_e32 0, v2
	s_cbranch_execz .LBB45_8
; %bb.7:
	v_lshrrev_b32_e32 v15, 3, v0
	s_delay_alu instid0(VALU_DEP_1)
	v_and_b32_e32 v15, 0x7c, v15
	ds_store_b32 v15, v14
.LBB45_8:
	s_or_b32 exec_lo, exec_lo, s3
	s_delay_alu instid0(SALU_CYCLE_1)
	s_mov_b32 s3, exec_lo
	s_waitcnt lgkmcnt(0)
	s_waitcnt_vscnt null, 0x0
	s_barrier
	buffer_gl0_inv
	v_cmpx_gt_u32_e32 32, v0
	s_cbranch_execz .LBB45_10
; %bb.9:
	v_lshlrev_b32_e32 v2, 2, v2
	v_add_nc_u32_e32 v14, 31, v1
	ds_load_b32 v2, v2
	v_lshrrev_b32_e32 v14, 5, v14
	s_delay_alu instid0(VALU_DEP_1) | instskip(SKIP_4) | instid1(VALU_DEP_1)
	v_cmp_lt_u32_e32 vcc_lo, v5, v14
	s_waitcnt lgkmcnt(0)
	ds_bpermute_b32 v4, v4, v2
	s_waitcnt lgkmcnt(0)
	v_add_f32_e32 v4, v2, v4
	v_cndmask_b32_e32 v2, v2, v4, vcc_lo
	v_cmp_lt_u32_e32 vcc_lo, v3, v14
	ds_bpermute_b32 v4, v6, v2
	s_waitcnt lgkmcnt(0)
	v_add_f32_e32 v4, v2, v4
	s_delay_alu instid0(VALU_DEP_1) | instskip(SKIP_4) | instid1(VALU_DEP_1)
	v_cndmask_b32_e32 v2, v2, v4, vcc_lo
	v_cmp_lt_u32_e32 vcc_lo, v9, v14
	ds_bpermute_b32 v3, v7, v2
	s_waitcnt lgkmcnt(0)
	v_add_f32_e32 v3, v2, v3
	v_cndmask_b32_e32 v2, v2, v3, vcc_lo
	v_cmp_lt_u32_e32 vcc_lo, v11, v14
	ds_bpermute_b32 v3, v10, v2
	s_waitcnt lgkmcnt(0)
	v_add_f32_e32 v3, v2, v3
	s_delay_alu instid0(VALU_DEP_1) | instskip(SKIP_4) | instid1(VALU_DEP_1)
	v_cndmask_b32_e32 v2, v2, v3, vcc_lo
	v_cmp_lt_u32_e32 vcc_lo, v13, v14
	ds_bpermute_b32 v3, v12, v2
	s_waitcnt lgkmcnt(0)
	v_add_f32_e32 v3, v2, v3
	v_cndmask_b32_e32 v14, v2, v3, vcc_lo
.LBB45_10:
	s_or_b32 exec_lo, exec_lo, s3
	s_delay_alu instid0(SALU_CYCLE_1)
	s_mov_b32 s3, exec_lo
	v_cmpx_eq_u32_e32 0, v0
	s_cbranch_execz .LBB45_12
; %bb.11:
	v_cvt_f32_i32_e32 v2, s14
	s_load_b32 s0, s[0:1], 0x20
	s_delay_alu instid0(VALU_DEP_1) | instskip(SKIP_1) | instid1(VALU_DEP_2)
	v_div_scale_f32 v3, null, v2, v2, v14
	v_div_scale_f32 v6, vcc_lo, v14, v2, v14
	v_rcp_f32_e32 v4, v3
	s_waitcnt_depctr 0xfff
	v_fma_f32 v5, -v3, v4, 1.0
	s_delay_alu instid0(VALU_DEP_1) | instskip(NEXT) | instid1(VALU_DEP_1)
	v_fmac_f32_e32 v4, v5, v4
	v_mul_f32_e32 v5, v6, v4
	s_delay_alu instid0(VALU_DEP_1) | instskip(NEXT) | instid1(VALU_DEP_1)
	v_fma_f32 v7, -v3, v5, v6
	v_fmac_f32_e32 v5, v7, v4
	s_delay_alu instid0(VALU_DEP_1) | instskip(NEXT) | instid1(VALU_DEP_1)
	v_fma_f32 v3, -v3, v5, v6
	v_div_fmas_f32 v3, v3, v4, v5
	s_delay_alu instid0(VALU_DEP_1) | instskip(SKIP_1) | instid1(VALU_DEP_1)
	v_div_fixup_f32 v2, v3, v2, v14
	s_waitcnt lgkmcnt(0)
	v_add_f32_e32 v2, s0, v2
	s_delay_alu instid0(VALU_DEP_1) | instskip(SKIP_1) | instid1(VALU_DEP_2)
	v_mul_f32_e32 v3, 0x4b800000, v2
	v_cmp_gt_f32_e32 vcc_lo, 0x800000, v2
	v_cndmask_b32_e32 v2, v2, v3, vcc_lo
	s_delay_alu instid0(VALU_DEP_1) | instskip(SKIP_2) | instid1(VALU_DEP_1)
	v_rsq_f32_e32 v2, v2
	s_waitcnt_depctr 0xfff
	v_mul_f32_e32 v3, 0x45800000, v2
	v_dual_cndmask_b32 v2, v2, v3 :: v_dual_mov_b32 v3, 0
	ds_store_b32 v3, v2 offset:128
.LBB45_12:
	s_or_b32 exec_lo, exec_lo, s3
	s_waitcnt lgkmcnt(0)
	s_barrier
	buffer_gl0_inv
	s_and_saveexec_b32 s0, s2
	s_cbranch_execz .LBB45_15
; %bb.13:
	s_add_i32 s11, s17, s16
	v_mov_b32_e32 v6, s6
	s_lshl_b64 s[0:1], s[10:11], 5
	v_mov_b32_e32 v7, s7
	s_add_u32 s0, s4, s0
	s_addc_u32 s1, s5, s1
	s_delay_alu instid0(SALU_CYCLE_1)
	v_dual_mov_b32 v2, 0 :: v_dual_mov_b32 v5, s1
	v_mov_b32_e32 v4, s0
	s_mov_b32 s1, 0
	ds_load_b32 v9, v2 offset:128
	v_lshlrev_b64 v[2:3], 5, v[1:2]
.LBB45_14:                              ; =>This Inner Loop Header: Depth=1
	v_add_nc_u32_e32 v14, s13, v0
	v_add_co_u32 v22, vcc_lo, v6, v8
	v_add_co_ci_u32_e32 v23, vcc_lo, 0, v7, vcc_lo
	s_delay_alu instid0(VALU_DEP_3) | instskip(SKIP_2) | instid1(VALU_DEP_1)
	v_ashrrev_i32_e32 v15, 31, v14
	global_load_b128 v[10:13], v[22:23], off
	v_lshlrev_b64 v[14:15], 5, v[14:15]
	v_add_co_u32 v18, vcc_lo, s8, v14
	s_delay_alu instid0(VALU_DEP_2)
	v_add_co_ci_u32_e32 v19, vcc_lo, s9, v15, vcc_lo
	v_add_co_u32 v26, vcc_lo, v4, v8
	v_add_co_ci_u32_e32 v27, vcc_lo, 0, v5, vcc_lo
	s_clause 0x1
	global_load_b128 v[14:17], v[18:19], off
	global_load_b128 v[18:21], v[18:19], off offset:16
	global_load_b128 v[22:25], v[22:23], off offset:16
	v_add_co_u32 v6, vcc_lo, v6, v2
	v_add_co_ci_u32_e32 v7, vcc_lo, v7, v3, vcc_lo
	v_add_co_u32 v4, vcc_lo, v4, v2
	v_add_co_ci_u32_e32 v5, vcc_lo, v5, v3, vcc_lo
	s_waitcnt vmcnt(2) lgkmcnt(0)
	v_mul_f32_e32 v15, v15, v9
	v_mul_f32_e32 v16, v16, v9
	s_waitcnt vmcnt(1)
	v_mul_f32_e32 v19, v19, v9
	v_add_nc_u32_e32 v0, v0, v1
	v_dual_mul_f32 v18, v18, v9 :: v_dual_mul_f32 v11, v15, v11
	v_mul_f32_e32 v12, v16, v12
	s_waitcnt vmcnt(0)
	v_dual_mul_f32 v14, v14, v9 :: v_dual_mul_f32 v15, v19, v23
	v_mul_f32_e32 v17, v17, v9
	v_mul_f32_e32 v20, v20, v9
	;; [unrolled: 1-line block ×3, first 2 shown]
	v_cmp_le_i32_e64 s0, s12, v0
	v_mul_f32_e32 v10, v14, v10
	v_dual_mul_f32 v14, v18, v22 :: v_dual_mul_f32 v13, v17, v13
	s_delay_alu instid0(VALU_DEP_4) | instskip(NEXT) | instid1(VALU_DEP_4)
	v_dual_mul_f32 v16, v20, v24 :: v_dual_mul_f32 v17, v21, v25
	s_or_b32 s1, s0, s1
	s_clause 0x1
	global_store_b128 v[26:27], v[10:13], off
	global_store_b128 v[26:27], v[14:17], off offset:16
	s_and_not1_b32 exec_lo, exec_lo, s1
	s_cbranch_execnz .LBB45_14
.LBB45_15:
	s_nop 0
	s_sendmsg sendmsg(MSG_DEALLOC_VGPRS)
	s_endpgm
	.section	.rodata,"a",@progbits
	.p2align	6, 0x0
	.amdhsa_kernel _ZN4vllm25fused_add_rms_norm_kernelIfLi8EEENSt9enable_ifIXaagtT0_Li0Esr12_typeConvertIT_EE6existsEvE4typeEPS2_lS5_PKS2_fii
		.amdhsa_group_segment_fixed_size 132
		.amdhsa_private_segment_fixed_size 0
		.amdhsa_kernarg_size 304
		.amdhsa_user_sgpr_count 15
		.amdhsa_user_sgpr_dispatch_ptr 0
		.amdhsa_user_sgpr_queue_ptr 0
		.amdhsa_user_sgpr_kernarg_segment_ptr 1
		.amdhsa_user_sgpr_dispatch_id 0
		.amdhsa_user_sgpr_private_segment_size 0
		.amdhsa_wavefront_size32 1
		.amdhsa_uses_dynamic_stack 0
		.amdhsa_enable_private_segment 0
		.amdhsa_system_sgpr_workgroup_id_x 1
		.amdhsa_system_sgpr_workgroup_id_y 0
		.amdhsa_system_sgpr_workgroup_id_z 0
		.amdhsa_system_sgpr_workgroup_info 0
		.amdhsa_system_vgpr_workitem_id 0
		.amdhsa_next_free_vgpr 28
		.amdhsa_next_free_sgpr 22
		.amdhsa_reserve_vcc 1
		.amdhsa_float_round_mode_32 0
		.amdhsa_float_round_mode_16_64 0
		.amdhsa_float_denorm_mode_32 3
		.amdhsa_float_denorm_mode_16_64 3
		.amdhsa_dx10_clamp 1
		.amdhsa_ieee_mode 1
		.amdhsa_fp16_overflow 0
		.amdhsa_workgroup_processor_mode 1
		.amdhsa_memory_ordered 1
		.amdhsa_forward_progress 0
		.amdhsa_shared_vgpr_count 0
		.amdhsa_exception_fp_ieee_invalid_op 0
		.amdhsa_exception_fp_denorm_src 0
		.amdhsa_exception_fp_ieee_div_zero 0
		.amdhsa_exception_fp_ieee_overflow 0
		.amdhsa_exception_fp_ieee_underflow 0
		.amdhsa_exception_fp_ieee_inexact 0
		.amdhsa_exception_int_div_zero 0
	.end_amdhsa_kernel
	.section	.text._ZN4vllm25fused_add_rms_norm_kernelIfLi8EEENSt9enable_ifIXaagtT0_Li0Esr12_typeConvertIT_EE6existsEvE4typeEPS2_lS5_PKS2_fii,"axG",@progbits,_ZN4vllm25fused_add_rms_norm_kernelIfLi8EEENSt9enable_ifIXaagtT0_Li0Esr12_typeConvertIT_EE6existsEvE4typeEPS2_lS5_PKS2_fii,comdat
.Lfunc_end45:
	.size	_ZN4vllm25fused_add_rms_norm_kernelIfLi8EEENSt9enable_ifIXaagtT0_Li0Esr12_typeConvertIT_EE6existsEvE4typeEPS2_lS5_PKS2_fii, .Lfunc_end45-_ZN4vllm25fused_add_rms_norm_kernelIfLi8EEENSt9enable_ifIXaagtT0_Li0Esr12_typeConvertIT_EE6existsEvE4typeEPS2_lS5_PKS2_fii
                                        ; -- End function
	.section	.AMDGPU.csdata,"",@progbits
; Kernel info:
; codeLenInByte = 1592
; NumSgprs: 24
; NumVgprs: 28
; ScratchSize: 0
; MemoryBound: 0
; FloatMode: 240
; IeeeMode: 1
; LDSByteSize: 132 bytes/workgroup (compile time only)
; SGPRBlocks: 2
; VGPRBlocks: 3
; NumSGPRsForWavesPerEU: 24
; NumVGPRsForWavesPerEU: 28
; Occupancy: 16
; WaveLimiterHint : 0
; COMPUTE_PGM_RSRC2:SCRATCH_EN: 0
; COMPUTE_PGM_RSRC2:USER_SGPR: 15
; COMPUTE_PGM_RSRC2:TRAP_HANDLER: 0
; COMPUTE_PGM_RSRC2:TGID_X_EN: 1
; COMPUTE_PGM_RSRC2:TGID_Y_EN: 0
; COMPUTE_PGM_RSRC2:TGID_Z_EN: 0
; COMPUTE_PGM_RSRC2:TIDIG_COMP_CNT: 0
	.section	.text._ZN4vllm25fused_add_rms_norm_kernelIN3c104HalfELi8EEENSt9enable_ifIXaagtT0_Li0Esr12_typeConvertIT_EE6existsEvE4typeEPS4_lS7_PKS4_fii,"axG",@progbits,_ZN4vllm25fused_add_rms_norm_kernelIN3c104HalfELi8EEENSt9enable_ifIXaagtT0_Li0Esr12_typeConvertIT_EE6existsEvE4typeEPS4_lS7_PKS4_fii,comdat
	.protected	_ZN4vllm25fused_add_rms_norm_kernelIN3c104HalfELi8EEENSt9enable_ifIXaagtT0_Li0Esr12_typeConvertIT_EE6existsEvE4typeEPS4_lS7_PKS4_fii ; -- Begin function _ZN4vllm25fused_add_rms_norm_kernelIN3c104HalfELi8EEENSt9enable_ifIXaagtT0_Li0Esr12_typeConvertIT_EE6existsEvE4typeEPS4_lS7_PKS4_fii
	.globl	_ZN4vllm25fused_add_rms_norm_kernelIN3c104HalfELi8EEENSt9enable_ifIXaagtT0_Li0Esr12_typeConvertIT_EE6existsEvE4typeEPS4_lS7_PKS4_fii
	.p2align	8
	.type	_ZN4vllm25fused_add_rms_norm_kernelIN3c104HalfELi8EEENSt9enable_ifIXaagtT0_Li0Esr12_typeConvertIT_EE6existsEvE4typeEPS4_lS7_PKS4_fii,@function
_ZN4vllm25fused_add_rms_norm_kernelIN3c104HalfELi8EEENSt9enable_ifIXaagtT0_Li0Esr12_typeConvertIT_EE6existsEvE4typeEPS4_lS7_PKS4_fii: ; @_ZN4vllm25fused_add_rms_norm_kernelIN3c104HalfELi8EEENSt9enable_ifIXaagtT0_Li0Esr12_typeConvertIT_EE6existsEvE4typeEPS4_lS7_PKS4_fii
; %bb.0:
	s_clause 0x2
	s_load_b32 s17, s[0:1], 0x28
	s_load_b128 s[4:7], s[0:1], 0x0
	s_load_b64 s[8:9], s[0:1], 0x10
                                        ; implicit-def: $sgpr13
	s_waitcnt lgkmcnt(0)
	s_ashr_i32 s2, s17, 31
	s_ashr_i32 s3, s7, 31
	s_lshr_b32 s2, s2, 29
	s_lshr_b32 s10, s3, 29
	s_add_i32 s2, s17, s2
	s_mov_b32 s3, 0
	s_ashr_i32 s12, s2, 3
	s_add_u32 s10, s6, s10
	v_cmp_gt_i32_e64 s2, s12, v0
	s_addc_u32 s11, s7, 0
	s_mov_b32 s6, exec_lo
	v_cmpx_le_i32_e64 s12, v0
	s_xor_b32 s6, exec_lo, s6
	s_cbranch_execz .LBB46_2
; %bb.1:
	s_load_b32 s7, s[0:1], 0x3c
	s_waitcnt lgkmcnt(0)
	s_and_b32 s13, s7, 0xffff
.LBB46_2:
	s_or_saveexec_b32 s18, s6
	s_load_b64 s[6:7], s[0:1], 0x18
	v_dual_mov_b32 v3, s3 :: v_dual_lshlrev_b32 v4, 4, v0
	v_mov_b32_e32 v1, s13
	s_ashr_i64 s[10:11], s[10:11], 3
	s_mul_i32 s13, s12, s15
	s_mul_i32 s14, s11, s15
	s_mul_hi_u32 s16, s10, s15
	s_mul_i32 s10, s10, s15
	s_xor_b32 exec_lo, exec_lo, s18
	s_cbranch_execz .LBB46_6
; %bb.3:
	s_load_b32 s3, s[0:1], 0x3c
	s_add_i32 s11, s16, s14
	v_mov_b32_e32 v3, 0
	s_lshl_b64 s[20:21], s[10:11], 4
	v_mov_b32_e32 v5, v0
	s_waitcnt lgkmcnt(0)
	s_and_b32 s11, s3, 0xffff
	s_add_u32 s3, s4, s20
	s_addc_u32 s15, s5, s21
	v_add_co_u32 v1, s3, s3, v4
	s_delay_alu instid0(VALU_DEP_1) | instskip(SKIP_1) | instid1(VALU_DEP_2)
	v_add_co_ci_u32_e64 v2, null, s15, 0, s3
	s_mov_b32 s15, 0
	v_add_co_u32 v1, vcc_lo, v1, 8
	s_delay_alu instid0(VALU_DEP_2)
	v_add_co_ci_u32_e32 v2, vcc_lo, 0, v2, vcc_lo
	s_lshl_b32 s19, s11, 4
.LBB46_4:                               ; =>This Inner Loop Header: Depth=1
	v_add_nc_u32_e32 v6, s13, v5
	v_add_nc_u32_e32 v5, s11, v5
	s_delay_alu instid0(VALU_DEP_2) | instskip(NEXT) | instid1(VALU_DEP_2)
	v_ashrrev_i32_e32 v7, 31, v6
	v_cmp_le_i32_e64 s3, s12, v5
	s_delay_alu instid0(VALU_DEP_2) | instskip(NEXT) | instid1(VALU_DEP_2)
	v_lshlrev_b64 v[6:7], 4, v[6:7]
	s_or_b32 s15, s3, s15
	s_delay_alu instid0(VALU_DEP_1) | instskip(NEXT) | instid1(VALU_DEP_2)
	v_add_co_u32 v14, vcc_lo, s8, v6
	v_add_co_ci_u32_e32 v15, vcc_lo, s9, v7, vcc_lo
	global_load_b128 v[6:9], v[1:2], off offset:-8
	global_load_b128 v[10:13], v[14:15], off
	v_add_co_u32 v1, vcc_lo, v1, s19
	v_add_co_ci_u32_e32 v2, vcc_lo, 0, v2, vcc_lo
	s_waitcnt vmcnt(0)
	v_pk_add_f16 v6, v6, v10
	v_pk_add_f16 v7, v7, v11
	;; [unrolled: 1-line block ×4, first 2 shown]
	s_delay_alu instid0(VALU_DEP_4) | instskip(NEXT) | instid1(VALU_DEP_4)
	v_lshrrev_b32_e32 v10, 16, v6
	v_lshrrev_b32_e32 v11, 16, v7
	s_delay_alu instid0(VALU_DEP_4) | instskip(NEXT) | instid1(VALU_DEP_4)
	v_lshrrev_b32_e32 v12, 16, v8
	v_lshrrev_b32_e32 v13, 16, v9
	global_store_b128 v[14:15], v[6:9], off
	v_cvt_f32_f16_e32 v10, v10
	v_cvt_f32_f16_e32 v11, v11
	;; [unrolled: 1-line block ×4, first 2 shown]
	s_delay_alu instid0(VALU_DEP_3) | instskip(NEXT) | instid1(VALU_DEP_2)
	v_dual_mul_f32 v10, v10, v10 :: v_dual_mul_f32 v11, v11, v11
	v_dual_mul_f32 v12, v12, v12 :: v_dual_mul_f32 v13, v13, v13
	s_delay_alu instid0(VALU_DEP_2) | instskip(NEXT) | instid1(VALU_DEP_3)
	v_fma_mix_f32 v10, v6, v6, v10 op_sel_hi:[1,1,0]
	v_fma_mix_f32 v11, v7, v7, v11 op_sel_hi:[1,1,0]
	s_delay_alu instid0(VALU_DEP_3) | instskip(NEXT) | instid1(VALU_DEP_2)
	v_fma_mix_f32 v12, v8, v8, v12 op_sel_hi:[1,1,0]
	v_add_f32_e32 v10, v10, v11
	v_fma_mix_f32 v11, v9, v9, v13 op_sel_hi:[1,1,0]
	s_delay_alu instid0(VALU_DEP_2) | instskip(NEXT) | instid1(VALU_DEP_1)
	v_add_f32_e32 v10, v10, v12
	v_add_f32_e32 v10, v10, v11
	s_delay_alu instid0(VALU_DEP_1)
	v_add_f32_e32 v3, v3, v10
	s_and_not1_b32 exec_lo, exec_lo, s15
	s_cbranch_execnz .LBB46_4
; %bb.5:
	s_or_b32 exec_lo, exec_lo, s15
	v_mov_b32_e32 v1, s11
.LBB46_6:
	s_or_b32 exec_lo, exec_lo, s18
	v_mbcnt_lo_u32_b32 v2, -1, 0
	s_mov_b32 s3, exec_lo
	s_delay_alu instid0(VALU_DEP_1) | instskip(SKIP_2) | instid1(VALU_DEP_2)
	v_cmp_ne_u32_e32 vcc_lo, 31, v2
	v_add_co_ci_u32_e32 v5, vcc_lo, 0, v2, vcc_lo
	v_cmp_gt_u32_e32 vcc_lo, 30, v2
	v_lshlrev_b32_e32 v5, 2, v5
	v_cndmask_b32_e64 v8, 0, 1, vcc_lo
	ds_bpermute_b32 v7, v5, v3
	s_waitcnt lgkmcnt(0)
	v_dual_add_f32 v9, v3, v7 :: v_dual_and_b32 v6, 0x3e0, v0
	s_delay_alu instid0(VALU_DEP_1) | instskip(SKIP_1) | instid1(VALU_DEP_1)
	v_sub_nc_u32_e64 v14, v1, v6 clamp
	v_add_nc_u32_e32 v6, 1, v2
	v_cmp_lt_u32_e32 vcc_lo, v6, v14
	s_delay_alu instid0(VALU_DEP_4) | instskip(NEXT) | instid1(VALU_DEP_1)
	v_dual_cndmask_b32 v9, v3, v9 :: v_dual_lshlrev_b32 v8, 1, v8
	v_add_lshl_u32 v7, v8, v2, 2
	v_cmp_gt_u32_e32 vcc_lo, 28, v2
	ds_bpermute_b32 v8, v7, v9
	v_cndmask_b32_e64 v3, 0, 1, vcc_lo
	s_delay_alu instid0(VALU_DEP_1) | instskip(SKIP_1) | instid1(VALU_DEP_1)
	v_lshlrev_b32_e32 v10, 2, v3
	v_add_nc_u32_e32 v3, 2, v2
	v_cmp_lt_u32_e32 vcc_lo, v3, v14
	s_waitcnt lgkmcnt(0)
	v_add_f32_e32 v11, v9, v8
	v_add_lshl_u32 v8, v10, v2, 2
	s_delay_alu instid0(VALU_DEP_2) | instskip(SKIP_2) | instid1(VALU_DEP_1)
	v_cndmask_b32_e32 v11, v9, v11, vcc_lo
	v_cmp_gt_u32_e32 vcc_lo, 24, v2
	v_cndmask_b32_e64 v9, 0, 1, vcc_lo
	v_lshlrev_b32_e32 v12, 3, v9
	ds_bpermute_b32 v10, v8, v11
	v_add_nc_u32_e32 v9, 4, v2
	s_delay_alu instid0(VALU_DEP_1) | instskip(SKIP_3) | instid1(VALU_DEP_2)
	v_cmp_lt_u32_e32 vcc_lo, v9, v14
	s_waitcnt lgkmcnt(0)
	v_add_f32_e32 v13, v11, v10
	v_add_lshl_u32 v10, v12, v2, 2
	v_cndmask_b32_e32 v13, v11, v13, vcc_lo
	v_cmp_gt_u32_e32 vcc_lo, 16, v2
	ds_bpermute_b32 v12, v10, v13
	v_cndmask_b32_e64 v11, 0, 1, vcc_lo
	s_delay_alu instid0(VALU_DEP_1) | instskip(SKIP_1) | instid1(VALU_DEP_1)
	v_lshlrev_b32_e32 v15, 4, v11
	v_add_nc_u32_e32 v11, 8, v2
	v_cmp_lt_u32_e32 vcc_lo, v11, v14
	s_waitcnt lgkmcnt(0)
	v_add_f32_e32 v16, v13, v12
	v_add_lshl_u32 v12, v15, v2, 2
	s_delay_alu instid0(VALU_DEP_2)
	v_cndmask_b32_e32 v15, v13, v16, vcc_lo
	v_add_nc_u32_e32 v13, 16, v2
	ds_bpermute_b32 v16, v12, v15
	v_cmp_lt_u32_e32 vcc_lo, v13, v14
	s_waitcnt lgkmcnt(0)
	v_add_f32_e32 v16, v15, v16
	s_delay_alu instid0(VALU_DEP_1)
	v_cndmask_b32_e32 v14, v15, v16, vcc_lo
	v_cmpx_eq_u32_e32 0, v2
	s_cbranch_execz .LBB46_8
; %bb.7:
	v_lshrrev_b32_e32 v15, 3, v0
	s_delay_alu instid0(VALU_DEP_1)
	v_and_b32_e32 v15, 0x7c, v15
	ds_store_b32 v15, v14
.LBB46_8:
	s_or_b32 exec_lo, exec_lo, s3
	s_delay_alu instid0(SALU_CYCLE_1)
	s_mov_b32 s3, exec_lo
	s_waitcnt lgkmcnt(0)
	s_waitcnt_vscnt null, 0x0
	s_barrier
	buffer_gl0_inv
	v_cmpx_gt_u32_e32 32, v0
	s_cbranch_execz .LBB46_10
; %bb.9:
	v_lshlrev_b32_e32 v2, 2, v2
	v_add_nc_u32_e32 v14, 31, v1
	ds_load_b32 v2, v2
	v_lshrrev_b32_e32 v14, 5, v14
	s_delay_alu instid0(VALU_DEP_1) | instskip(SKIP_4) | instid1(VALU_DEP_1)
	v_cmp_lt_u32_e32 vcc_lo, v6, v14
	s_waitcnt lgkmcnt(0)
	ds_bpermute_b32 v5, v5, v2
	s_waitcnt lgkmcnt(0)
	v_add_f32_e32 v5, v2, v5
	v_cndmask_b32_e32 v2, v2, v5, vcc_lo
	v_cmp_lt_u32_e32 vcc_lo, v3, v14
	ds_bpermute_b32 v5, v7, v2
	s_waitcnt lgkmcnt(0)
	v_add_f32_e32 v5, v2, v5
	s_delay_alu instid0(VALU_DEP_1) | instskip(SKIP_4) | instid1(VALU_DEP_1)
	v_cndmask_b32_e32 v2, v2, v5, vcc_lo
	v_cmp_lt_u32_e32 vcc_lo, v9, v14
	ds_bpermute_b32 v3, v8, v2
	s_waitcnt lgkmcnt(0)
	v_add_f32_e32 v3, v2, v3
	v_cndmask_b32_e32 v2, v2, v3, vcc_lo
	v_cmp_lt_u32_e32 vcc_lo, v11, v14
	ds_bpermute_b32 v3, v10, v2
	s_waitcnt lgkmcnt(0)
	v_add_f32_e32 v3, v2, v3
	s_delay_alu instid0(VALU_DEP_1) | instskip(SKIP_4) | instid1(VALU_DEP_1)
	v_cndmask_b32_e32 v2, v2, v3, vcc_lo
	v_cmp_lt_u32_e32 vcc_lo, v13, v14
	ds_bpermute_b32 v3, v12, v2
	s_waitcnt lgkmcnt(0)
	v_add_f32_e32 v3, v2, v3
	v_cndmask_b32_e32 v14, v2, v3, vcc_lo
.LBB46_10:
	s_or_b32 exec_lo, exec_lo, s3
	s_delay_alu instid0(SALU_CYCLE_1)
	s_mov_b32 s3, exec_lo
	v_cmpx_eq_u32_e32 0, v0
	s_cbranch_execz .LBB46_12
; %bb.11:
	v_cvt_f32_i32_e32 v2, s17
	s_load_b32 s0, s[0:1], 0x20
	s_delay_alu instid0(VALU_DEP_1) | instskip(SKIP_1) | instid1(VALU_DEP_2)
	v_div_scale_f32 v3, null, v2, v2, v14
	v_div_scale_f32 v7, vcc_lo, v14, v2, v14
	v_rcp_f32_e32 v5, v3
	s_waitcnt_depctr 0xfff
	v_fma_f32 v6, -v3, v5, 1.0
	s_delay_alu instid0(VALU_DEP_1) | instskip(NEXT) | instid1(VALU_DEP_1)
	v_fmac_f32_e32 v5, v6, v5
	v_mul_f32_e32 v6, v7, v5
	s_delay_alu instid0(VALU_DEP_1) | instskip(NEXT) | instid1(VALU_DEP_1)
	v_fma_f32 v8, -v3, v6, v7
	v_fmac_f32_e32 v6, v8, v5
	s_delay_alu instid0(VALU_DEP_1) | instskip(NEXT) | instid1(VALU_DEP_1)
	v_fma_f32 v3, -v3, v6, v7
	v_div_fmas_f32 v3, v3, v5, v6
	s_delay_alu instid0(VALU_DEP_1) | instskip(SKIP_1) | instid1(VALU_DEP_1)
	v_div_fixup_f32 v2, v3, v2, v14
	s_waitcnt lgkmcnt(0)
	v_add_f32_e32 v2, s0, v2
	s_delay_alu instid0(VALU_DEP_1) | instskip(SKIP_1) | instid1(VALU_DEP_2)
	v_mul_f32_e32 v3, 0x4b800000, v2
	v_cmp_gt_f32_e32 vcc_lo, 0x800000, v2
	v_cndmask_b32_e32 v2, v2, v3, vcc_lo
	s_delay_alu instid0(VALU_DEP_1) | instskip(SKIP_2) | instid1(VALU_DEP_1)
	v_rsq_f32_e32 v2, v2
	s_waitcnt_depctr 0xfff
	v_mul_f32_e32 v3, 0x45800000, v2
	v_dual_cndmask_b32 v2, v2, v3 :: v_dual_mov_b32 v3, 0
	ds_store_b32 v3, v2 offset:128
.LBB46_12:
	s_or_b32 exec_lo, exec_lo, s3
	s_waitcnt lgkmcnt(0)
	s_barrier
	buffer_gl0_inv
	s_and_saveexec_b32 s0, s2
	s_cbranch_execz .LBB46_15
; %bb.13:
	v_mov_b32_e32 v5, 0
	s_add_i32 s11, s16, s14
	s_delay_alu instid0(SALU_CYCLE_1) | instskip(NEXT) | instid1(SALU_CYCLE_1)
	s_lshl_b64 s[2:3], s[10:11], 4
	s_add_u32 s1, s4, s2
	ds_load_b32 v6, v5 offset:128
	v_mov_b32_e32 v2, v5
	s_addc_u32 s2, s5, s3
	s_mov_b32 s3, 0
	s_delay_alu instid0(VALU_DEP_1)
	v_lshlrev_b64 v[2:3], 4, v[1:2]
.LBB46_14:                              ; =>This Inner Loop Header: Depth=1
	v_add_nc_u32_e32 v7, s13, v0
	v_add_co_u32 v11, vcc_lo, s6, v4
	v_add_co_ci_u32_e32 v12, vcc_lo, s7, v5, vcc_lo
	s_delay_alu instid0(VALU_DEP_3)
	v_ashrrev_i32_e32 v8, 31, v7
	v_add_nc_u32_e32 v0, v0, v1
	v_add_co_u32 v15, vcc_lo, s1, v4
	global_load_b128 v[11:14], v[11:12], off
	v_lshlrev_b64 v[7:8], 4, v[7:8]
	v_add_co_ci_u32_e32 v16, vcc_lo, s2, v5, vcc_lo
	v_add_co_u32 v4, vcc_lo, v4, v2
	v_add_co_ci_u32_e32 v5, vcc_lo, v5, v3, vcc_lo
	s_delay_alu instid0(VALU_DEP_4) | instskip(NEXT) | instid1(VALU_DEP_1)
	v_add_co_u32 v7, s0, s8, v7
	v_add_co_ci_u32_e64 v8, s0, s9, v8, s0
	v_cmp_le_i32_e64 s0, s12, v0
	global_load_b128 v[7:10], v[7:8], off
	s_or_b32 s3, s0, s3
	s_waitcnt vmcnt(0) lgkmcnt(0)
	v_fma_mixlo_f16 v17, v6, v7, 0 op_sel_hi:[0,1,0]
	v_fma_mixlo_f16 v18, v6, v8, 0 op_sel_hi:[0,1,0]
	;; [unrolled: 1-line block ×4, first 2 shown]
	s_delay_alu instid0(VALU_DEP_4) | instskip(NEXT) | instid1(VALU_DEP_4)
	v_fma_mixhi_f16 v17, v6, v7, 0 op_sel:[0,1,0] op_sel_hi:[0,1,0]
	v_fma_mixhi_f16 v18, v6, v8, 0 op_sel:[0,1,0] op_sel_hi:[0,1,0]
	s_delay_alu instid0(VALU_DEP_4) | instskip(NEXT) | instid1(VALU_DEP_4)
	v_fma_mixhi_f16 v19, v6, v9, 0 op_sel:[0,1,0] op_sel_hi:[0,1,0]
	v_fma_mixhi_f16 v20, v6, v10, 0 op_sel:[0,1,0] op_sel_hi:[0,1,0]
	s_delay_alu instid0(VALU_DEP_4) | instskip(NEXT) | instid1(VALU_DEP_4)
	v_pk_mul_f16 v7, v11, v17
	v_pk_mul_f16 v8, v12, v18
	s_delay_alu instid0(VALU_DEP_4) | instskip(NEXT) | instid1(VALU_DEP_4)
	v_pk_mul_f16 v9, v13, v19
	v_pk_mul_f16 v10, v14, v20
	global_store_b128 v[15:16], v[7:10], off
	s_and_not1_b32 exec_lo, exec_lo, s3
	s_cbranch_execnz .LBB46_14
.LBB46_15:
	s_nop 0
	s_sendmsg sendmsg(MSG_DEALLOC_VGPRS)
	s_endpgm
	.section	.rodata,"a",@progbits
	.p2align	6, 0x0
	.amdhsa_kernel _ZN4vllm25fused_add_rms_norm_kernelIN3c104HalfELi8EEENSt9enable_ifIXaagtT0_Li0Esr12_typeConvertIT_EE6existsEvE4typeEPS4_lS7_PKS4_fii
		.amdhsa_group_segment_fixed_size 132
		.amdhsa_private_segment_fixed_size 0
		.amdhsa_kernarg_size 304
		.amdhsa_user_sgpr_count 15
		.amdhsa_user_sgpr_dispatch_ptr 0
		.amdhsa_user_sgpr_queue_ptr 0
		.amdhsa_user_sgpr_kernarg_segment_ptr 1
		.amdhsa_user_sgpr_dispatch_id 0
		.amdhsa_user_sgpr_private_segment_size 0
		.amdhsa_wavefront_size32 1
		.amdhsa_uses_dynamic_stack 0
		.amdhsa_enable_private_segment 0
		.amdhsa_system_sgpr_workgroup_id_x 1
		.amdhsa_system_sgpr_workgroup_id_y 0
		.amdhsa_system_sgpr_workgroup_id_z 0
		.amdhsa_system_sgpr_workgroup_info 0
		.amdhsa_system_vgpr_workitem_id 0
		.amdhsa_next_free_vgpr 21
		.amdhsa_next_free_sgpr 22
		.amdhsa_reserve_vcc 1
		.amdhsa_float_round_mode_32 0
		.amdhsa_float_round_mode_16_64 0
		.amdhsa_float_denorm_mode_32 3
		.amdhsa_float_denorm_mode_16_64 3
		.amdhsa_dx10_clamp 1
		.amdhsa_ieee_mode 1
		.amdhsa_fp16_overflow 0
		.amdhsa_workgroup_processor_mode 1
		.amdhsa_memory_ordered 1
		.amdhsa_forward_progress 0
		.amdhsa_shared_vgpr_count 0
		.amdhsa_exception_fp_ieee_invalid_op 0
		.amdhsa_exception_fp_denorm_src 0
		.amdhsa_exception_fp_ieee_div_zero 0
		.amdhsa_exception_fp_ieee_overflow 0
		.amdhsa_exception_fp_ieee_underflow 0
		.amdhsa_exception_fp_ieee_inexact 0
		.amdhsa_exception_int_div_zero 0
	.end_amdhsa_kernel
	.section	.text._ZN4vllm25fused_add_rms_norm_kernelIN3c104HalfELi8EEENSt9enable_ifIXaagtT0_Li0Esr12_typeConvertIT_EE6existsEvE4typeEPS4_lS7_PKS4_fii,"axG",@progbits,_ZN4vllm25fused_add_rms_norm_kernelIN3c104HalfELi8EEENSt9enable_ifIXaagtT0_Li0Esr12_typeConvertIT_EE6existsEvE4typeEPS4_lS7_PKS4_fii,comdat
.Lfunc_end46:
	.size	_ZN4vllm25fused_add_rms_norm_kernelIN3c104HalfELi8EEENSt9enable_ifIXaagtT0_Li0Esr12_typeConvertIT_EE6existsEvE4typeEPS4_lS7_PKS4_fii, .Lfunc_end46-_ZN4vllm25fused_add_rms_norm_kernelIN3c104HalfELi8EEENSt9enable_ifIXaagtT0_Li0Esr12_typeConvertIT_EE6existsEvE4typeEPS4_lS7_PKS4_fii
                                        ; -- End function
	.section	.AMDGPU.csdata,"",@progbits
; Kernel info:
; codeLenInByte = 1596
; NumSgprs: 24
; NumVgprs: 21
; ScratchSize: 0
; MemoryBound: 0
; FloatMode: 240
; IeeeMode: 1
; LDSByteSize: 132 bytes/workgroup (compile time only)
; SGPRBlocks: 2
; VGPRBlocks: 2
; NumSGPRsForWavesPerEU: 24
; NumVGPRsForWavesPerEU: 21
; Occupancy: 16
; WaveLimiterHint : 0
; COMPUTE_PGM_RSRC2:SCRATCH_EN: 0
; COMPUTE_PGM_RSRC2:USER_SGPR: 15
; COMPUTE_PGM_RSRC2:TRAP_HANDLER: 0
; COMPUTE_PGM_RSRC2:TGID_X_EN: 1
; COMPUTE_PGM_RSRC2:TGID_Y_EN: 0
; COMPUTE_PGM_RSRC2:TGID_Z_EN: 0
; COMPUTE_PGM_RSRC2:TIDIG_COMP_CNT: 0
	.section	.text._ZN4vllm25fused_add_rms_norm_kernelIN3c108BFloat16ELi8EEENSt9enable_ifIXaagtT0_Li0Esr12_typeConvertIT_EE6existsEvE4typeEPS4_lS7_PKS4_fii,"axG",@progbits,_ZN4vllm25fused_add_rms_norm_kernelIN3c108BFloat16ELi8EEENSt9enable_ifIXaagtT0_Li0Esr12_typeConvertIT_EE6existsEvE4typeEPS4_lS7_PKS4_fii,comdat
	.protected	_ZN4vllm25fused_add_rms_norm_kernelIN3c108BFloat16ELi8EEENSt9enable_ifIXaagtT0_Li0Esr12_typeConvertIT_EE6existsEvE4typeEPS4_lS7_PKS4_fii ; -- Begin function _ZN4vllm25fused_add_rms_norm_kernelIN3c108BFloat16ELi8EEENSt9enable_ifIXaagtT0_Li0Esr12_typeConvertIT_EE6existsEvE4typeEPS4_lS7_PKS4_fii
	.globl	_ZN4vllm25fused_add_rms_norm_kernelIN3c108BFloat16ELi8EEENSt9enable_ifIXaagtT0_Li0Esr12_typeConvertIT_EE6existsEvE4typeEPS4_lS7_PKS4_fii
	.p2align	8
	.type	_ZN4vllm25fused_add_rms_norm_kernelIN3c108BFloat16ELi8EEENSt9enable_ifIXaagtT0_Li0Esr12_typeConvertIT_EE6existsEvE4typeEPS4_lS7_PKS4_fii,@function
_ZN4vllm25fused_add_rms_norm_kernelIN3c108BFloat16ELi8EEENSt9enable_ifIXaagtT0_Li0Esr12_typeConvertIT_EE6existsEvE4typeEPS4_lS7_PKS4_fii: ; @_ZN4vllm25fused_add_rms_norm_kernelIN3c108BFloat16ELi8EEENSt9enable_ifIXaagtT0_Li0Esr12_typeConvertIT_EE6existsEvE4typeEPS4_lS7_PKS4_fii
; %bb.0:
	s_clause 0x2
	s_load_b32 s10, s[0:1], 0x28
	s_load_b128 s[4:7], s[0:1], 0x0
	s_load_b64 s[18:19], s[0:1], 0x10
	s_mov_b32 s11, exec_lo
                                        ; implicit-def: $sgpr9
	s_waitcnt lgkmcnt(0)
	s_ashr_i32 s2, s10, 31
	s_ashr_i32 s3, s7, 31
	s_lshr_b32 s2, s2, 29
	s_lshr_b32 s8, s3, 29
	s_add_i32 s2, s10, s2
	s_mov_b32 s3, 0
	s_ashr_i32 s17, s2, 3
	s_add_u32 s6, s6, s8
	v_cmp_gt_i32_e64 s2, s17, v0
	s_addc_u32 s7, s7, 0
                                        ; implicit-def: $sgpr8
	v_cmpx_le_i32_e64 s17, v0
	s_xor_b32 s11, exec_lo, s11
	s_cbranch_execz .LBB47_2
; %bb.1:
	s_load_b32 s8, s[0:1], 0x3c
	s_waitcnt lgkmcnt(0)
	s_and_b32 s9, s8, 0xffff
.LBB47_2:
	s_or_saveexec_b32 s11, s11
	s_load_b64 s[20:21], s[0:1], 0x18
	v_dual_mov_b32 v10, s3 :: v_dual_mov_b32 v1, s8
	v_mov_b32_e32 v9, s9
	s_ashr_i64 s[6:7], s[6:7], 3
	s_mul_i32 s24, s17, s15
	s_mul_i32 s8, s7, s15
	s_mul_hi_u32 s9, s6, s15
	s_mul_i32 s6, s6, s15
	s_xor_b32 exec_lo, exec_lo, s11
	s_cbranch_execz .LBB47_38
; %bb.3:
	s_load_b32 s12, s[0:1], 0x3c
	s_add_i32 s7, s9, s8
	v_dual_mov_b32 v10, 0 :: v_dual_lshlrev_b32 v1, 4, v0
	s_lshl_b64 s[14:15], s[6:7], 4
	v_mov_b32_e32 v9, v0
	s_waitcnt lgkmcnt(0)
	s_and_b32 s7, s12, 0xffff
	s_add_u32 s3, s4, s14
	s_addc_u32 s13, s5, s15
	v_add_co_u32 v1, s3, s3, v1
	s_delay_alu instid0(VALU_DEP_1) | instskip(SKIP_1) | instid1(VALU_DEP_2)
	v_add_co_ci_u32_e64 v2, null, s13, 0, s3
	s_mov_b32 s13, 0
	v_add_co_u32 v5, vcc_lo, v1, 14
	s_delay_alu instid0(VALU_DEP_2)
	v_add_co_ci_u32_e32 v6, vcc_lo, 0, v2, vcc_lo
	s_lshl_b32 s14, s7, 4
	s_branch .LBB47_5
.LBB47_4:                               ;   in Loop: Header=BB47_5 Depth=1
	s_or_b32 exec_lo, exec_lo, s3
	v_and_b32_e32 v16, 0xffff0000, v2
	v_and_b32_e32 v15, 0xffff0000, v1
	;; [unrolled: 1-line block ×5, first 2 shown]
	s_delay_alu instid0(VALU_DEP_4) | instskip(SKIP_1) | instid1(VALU_DEP_4)
	v_dual_mul_f32 v16, v16, v16 :: v_dual_mul_f32 v15, v15, v15
	v_add_nc_u32_e32 v9, s7, v9
	v_mul_f32_e32 v19, v19, v19
	s_delay_alu instid0(VALU_DEP_3) | instskip(SKIP_3) | instid1(VALU_DEP_4)
	v_dual_fmac_f32 v16, v18, v18 :: v_dual_and_b32 v17, 0xffff0000, v11
	v_mul_f32_e32 v18, v21, v21
	v_perm_b32 v4, v4, v14, 0x7060302
	v_cmp_le_i32_e32 vcc_lo, s17, v9
	v_fmac_f32_e32 v15, v17, v17
	v_and_b32_e32 v20, 0xffff0000, v13
	v_and_b32_e32 v17, 0xffff0000, v14
	v_add_co_u32 v5, s3, v5, s14
	s_delay_alu instid0(VALU_DEP_4) | instskip(SKIP_1) | instid1(VALU_DEP_4)
	v_add_f32_e32 v15, v15, v16
	v_perm_b32 v3, v3, v13, 0x7060302
	v_dual_fmac_f32 v18, v17, v17 :: v_dual_fmac_f32 v19, v20, v20
	v_perm_b32 v2, v2, v12, 0x7060302
	v_perm_b32 v1, v1, v11, 0x7060302
	v_add_co_ci_u32_e64 v6, s3, 0, v6, s3
	s_delay_alu instid0(VALU_DEP_4) | instskip(SKIP_3) | instid1(VALU_DEP_1)
	v_add_f32_e32 v15, v15, v19
	s_or_b32 s13, vcc_lo, s13
	global_store_b128 v[7:8], v[1:4], off
	v_add_f32_e32 v14, v15, v18
	v_add_f32_e32 v10, v10, v14
	s_and_not1_b32 exec_lo, exec_lo, s13
	s_cbranch_execz .LBB47_37
.LBB47_5:                               ; =>This Inner Loop Header: Depth=1
	v_add_nc_u32_e32 v1, s24, v9
	s_delay_alu instid0(VALU_DEP_1) | instskip(NEXT) | instid1(VALU_DEP_1)
	v_ashrrev_i32_e32 v2, 31, v1
	v_lshlrev_b64 v[1:2], 4, v[1:2]
	s_delay_alu instid0(VALU_DEP_1) | instskip(NEXT) | instid1(VALU_DEP_2)
	v_add_co_u32 v7, vcc_lo, s18, v1
	v_add_co_ci_u32_e32 v8, vcc_lo, s19, v2, vcc_lo
	global_load_b32 v12, v[7:8], off
	global_load_b128 v[1:4], v[5:6], off offset:-14
	s_waitcnt vmcnt(1)
	v_lshlrev_b32_e32 v11, 16, v12
	s_waitcnt vmcnt(0)
	v_lshlrev_b32_e32 v13, 16, v1
	s_delay_alu instid0(VALU_DEP_1) | instskip(NEXT) | instid1(VALU_DEP_1)
	v_add_f32_e32 v13, v13, v11
	v_and_b32_e32 v11, 0x7f800000, v13
	s_delay_alu instid0(VALU_DEP_1) | instskip(SKIP_1) | instid1(SALU_CYCLE_1)
	v_cmp_ne_u32_e32 vcc_lo, 0x7f800000, v11
                                        ; implicit-def: $vgpr11
	s_and_saveexec_b32 s3, vcc_lo
	s_xor_b32 s3, exec_lo, s3
; %bb.6:                                ;   in Loop: Header=BB47_5 Depth=1
	v_bfe_u32 v11, v13, 16, 1
	s_delay_alu instid0(VALU_DEP_1)
	v_add3_u32 v11, v13, v11, 0x7fff
                                        ; implicit-def: $vgpr13
; %bb.7:                                ;   in Loop: Header=BB47_5 Depth=1
	s_and_not1_saveexec_b32 s3, s3
; %bb.8:                                ;   in Loop: Header=BB47_5 Depth=1
	v_and_b32_e32 v11, 0xffff, v13
	v_or_b32_e32 v14, 0x10000, v13
	s_delay_alu instid0(VALU_DEP_2) | instskip(NEXT) | instid1(VALU_DEP_2)
	v_cmp_eq_u32_e32 vcc_lo, 0, v11
	v_cndmask_b32_e32 v11, v14, v13, vcc_lo
; %bb.9:                                ;   in Loop: Header=BB47_5 Depth=1
	s_or_b32 exec_lo, exec_lo, s3
	v_and_b32_e32 v1, 0xffff0000, v1
	v_and_b32_e32 v12, 0xffff0000, v12
	s_delay_alu instid0(VALU_DEP_1) | instskip(NEXT) | instid1(VALU_DEP_1)
	v_add_f32_e32 v12, v1, v12
	v_and_b32_e32 v1, 0x7f800000, v12
	s_delay_alu instid0(VALU_DEP_1) | instskip(SKIP_1) | instid1(SALU_CYCLE_1)
	v_cmp_ne_u32_e32 vcc_lo, 0x7f800000, v1
                                        ; implicit-def: $vgpr1
	s_and_saveexec_b32 s3, vcc_lo
	s_xor_b32 s3, exec_lo, s3
; %bb.10:                               ;   in Loop: Header=BB47_5 Depth=1
	v_bfe_u32 v1, v12, 16, 1
	s_delay_alu instid0(VALU_DEP_1)
	v_add3_u32 v1, v12, v1, 0x7fff
                                        ; implicit-def: $vgpr12
; %bb.11:                               ;   in Loop: Header=BB47_5 Depth=1
	s_and_not1_saveexec_b32 s3, s3
; %bb.12:                               ;   in Loop: Header=BB47_5 Depth=1
	v_and_b32_e32 v1, 0xffff, v12
	v_or_b32_e32 v13, 0x10000, v12
	s_delay_alu instid0(VALU_DEP_2) | instskip(NEXT) | instid1(VALU_DEP_2)
	v_cmp_eq_u32_e32 vcc_lo, 0, v1
	v_cndmask_b32_e32 v1, v13, v12, vcc_lo
; %bb.13:                               ;   in Loop: Header=BB47_5 Depth=1
	s_or_b32 exec_lo, exec_lo, s3
	global_load_b32 v13, v[7:8], off offset:4
	v_lshlrev_b32_e32 v12, 16, v2
	s_waitcnt vmcnt(0)
	v_lshlrev_b32_e32 v14, 16, v13
	s_delay_alu instid0(VALU_DEP_1) | instskip(NEXT) | instid1(VALU_DEP_1)
	v_add_f32_e32 v14, v12, v14
	v_and_b32_e32 v12, 0x7f800000, v14
	s_delay_alu instid0(VALU_DEP_1) | instskip(SKIP_1) | instid1(SALU_CYCLE_1)
	v_cmp_ne_u32_e32 vcc_lo, 0x7f800000, v12
                                        ; implicit-def: $vgpr12
	s_and_saveexec_b32 s3, vcc_lo
	s_xor_b32 s3, exec_lo, s3
; %bb.14:                               ;   in Loop: Header=BB47_5 Depth=1
	v_bfe_u32 v12, v14, 16, 1
	s_delay_alu instid0(VALU_DEP_1)
	v_add3_u32 v12, v14, v12, 0x7fff
                                        ; implicit-def: $vgpr14
; %bb.15:                               ;   in Loop: Header=BB47_5 Depth=1
	s_and_not1_saveexec_b32 s3, s3
; %bb.16:                               ;   in Loop: Header=BB47_5 Depth=1
	v_and_b32_e32 v12, 0xffff, v14
	v_or_b32_e32 v15, 0x10000, v14
	s_delay_alu instid0(VALU_DEP_2) | instskip(NEXT) | instid1(VALU_DEP_2)
	v_cmp_eq_u32_e32 vcc_lo, 0, v12
	v_cndmask_b32_e32 v12, v15, v14, vcc_lo
; %bb.17:                               ;   in Loop: Header=BB47_5 Depth=1
	s_or_b32 exec_lo, exec_lo, s3
	v_and_b32_e32 v2, 0xffff0000, v2
	v_and_b32_e32 v13, 0xffff0000, v13
	s_delay_alu instid0(VALU_DEP_1) | instskip(NEXT) | instid1(VALU_DEP_1)
	v_add_f32_e32 v13, v2, v13
	v_and_b32_e32 v2, 0x7f800000, v13
	s_delay_alu instid0(VALU_DEP_1) | instskip(SKIP_1) | instid1(SALU_CYCLE_1)
	v_cmp_ne_u32_e32 vcc_lo, 0x7f800000, v2
                                        ; implicit-def: $vgpr2
	s_and_saveexec_b32 s3, vcc_lo
	s_xor_b32 s3, exec_lo, s3
; %bb.18:                               ;   in Loop: Header=BB47_5 Depth=1
	v_bfe_u32 v2, v13, 16, 1
	s_delay_alu instid0(VALU_DEP_1)
	v_add3_u32 v2, v13, v2, 0x7fff
                                        ; implicit-def: $vgpr13
; %bb.19:                               ;   in Loop: Header=BB47_5 Depth=1
	s_and_not1_saveexec_b32 s3, s3
; %bb.20:                               ;   in Loop: Header=BB47_5 Depth=1
	v_and_b32_e32 v2, 0xffff, v13
	v_or_b32_e32 v14, 0x10000, v13
	s_delay_alu instid0(VALU_DEP_2) | instskip(NEXT) | instid1(VALU_DEP_2)
	v_cmp_eq_u32_e32 vcc_lo, 0, v2
	v_cndmask_b32_e32 v2, v14, v13, vcc_lo
; %bb.21:                               ;   in Loop: Header=BB47_5 Depth=1
	s_or_b32 exec_lo, exec_lo, s3
	global_load_b32 v14, v[7:8], off offset:8
	v_lshlrev_b32_e32 v13, 16, v3
	s_waitcnt vmcnt(0)
	v_lshlrev_b32_e32 v15, 16, v14
	s_delay_alu instid0(VALU_DEP_1) | instskip(NEXT) | instid1(VALU_DEP_1)
	v_add_f32_e32 v15, v13, v15
	v_and_b32_e32 v13, 0x7f800000, v15
	s_delay_alu instid0(VALU_DEP_1) | instskip(SKIP_1) | instid1(SALU_CYCLE_1)
	v_cmp_ne_u32_e32 vcc_lo, 0x7f800000, v13
                                        ; implicit-def: $vgpr13
	s_and_saveexec_b32 s3, vcc_lo
	s_xor_b32 s3, exec_lo, s3
; %bb.22:                               ;   in Loop: Header=BB47_5 Depth=1
	v_bfe_u32 v13, v15, 16, 1
	s_delay_alu instid0(VALU_DEP_1)
	v_add3_u32 v13, v15, v13, 0x7fff
                                        ; implicit-def: $vgpr15
; %bb.23:                               ;   in Loop: Header=BB47_5 Depth=1
	s_and_not1_saveexec_b32 s3, s3
; %bb.24:                               ;   in Loop: Header=BB47_5 Depth=1
	v_and_b32_e32 v13, 0xffff, v15
	v_or_b32_e32 v16, 0x10000, v15
	s_delay_alu instid0(VALU_DEP_2) | instskip(NEXT) | instid1(VALU_DEP_2)
	v_cmp_eq_u32_e32 vcc_lo, 0, v13
	v_cndmask_b32_e32 v13, v16, v15, vcc_lo
; %bb.25:                               ;   in Loop: Header=BB47_5 Depth=1
	s_or_b32 exec_lo, exec_lo, s3
	v_and_b32_e32 v3, 0xffff0000, v3
	v_and_b32_e32 v14, 0xffff0000, v14
	s_delay_alu instid0(VALU_DEP_1) | instskip(NEXT) | instid1(VALU_DEP_1)
	v_add_f32_e32 v14, v3, v14
	v_and_b32_e32 v3, 0x7f800000, v14
	s_delay_alu instid0(VALU_DEP_1) | instskip(SKIP_1) | instid1(SALU_CYCLE_1)
	v_cmp_ne_u32_e32 vcc_lo, 0x7f800000, v3
                                        ; implicit-def: $vgpr3
	s_and_saveexec_b32 s3, vcc_lo
	s_xor_b32 s3, exec_lo, s3
; %bb.26:                               ;   in Loop: Header=BB47_5 Depth=1
	v_bfe_u32 v3, v14, 16, 1
	s_delay_alu instid0(VALU_DEP_1)
	v_add3_u32 v3, v14, v3, 0x7fff
                                        ; implicit-def: $vgpr14
; %bb.27:                               ;   in Loop: Header=BB47_5 Depth=1
	s_and_not1_saveexec_b32 s3, s3
; %bb.28:                               ;   in Loop: Header=BB47_5 Depth=1
	v_and_b32_e32 v3, 0xffff, v14
	v_or_b32_e32 v15, 0x10000, v14
	s_delay_alu instid0(VALU_DEP_2) | instskip(NEXT) | instid1(VALU_DEP_2)
	v_cmp_eq_u32_e32 vcc_lo, 0, v3
	v_cndmask_b32_e32 v3, v15, v14, vcc_lo
; %bb.29:                               ;   in Loop: Header=BB47_5 Depth=1
	s_or_b32 exec_lo, exec_lo, s3
	global_load_b32 v15, v[7:8], off offset:12
	v_lshlrev_b32_e32 v14, 16, v4
	s_waitcnt vmcnt(0)
	v_lshlrev_b32_e32 v16, 16, v15
	s_delay_alu instid0(VALU_DEP_1) | instskip(NEXT) | instid1(VALU_DEP_1)
	v_add_f32_e32 v16, v14, v16
	v_and_b32_e32 v14, 0x7f800000, v16
	s_delay_alu instid0(VALU_DEP_1) | instskip(SKIP_1) | instid1(SALU_CYCLE_1)
	v_cmp_ne_u32_e32 vcc_lo, 0x7f800000, v14
                                        ; implicit-def: $vgpr14
	s_and_saveexec_b32 s3, vcc_lo
	s_xor_b32 s3, exec_lo, s3
; %bb.30:                               ;   in Loop: Header=BB47_5 Depth=1
	v_bfe_u32 v14, v16, 16, 1
	s_delay_alu instid0(VALU_DEP_1)
	v_add3_u32 v14, v16, v14, 0x7fff
                                        ; implicit-def: $vgpr16
; %bb.31:                               ;   in Loop: Header=BB47_5 Depth=1
	s_and_not1_saveexec_b32 s3, s3
; %bb.32:                               ;   in Loop: Header=BB47_5 Depth=1
	v_and_b32_e32 v14, 0xffff, v16
	v_or_b32_e32 v17, 0x10000, v16
	s_delay_alu instid0(VALU_DEP_2) | instskip(NEXT) | instid1(VALU_DEP_2)
	v_cmp_eq_u32_e32 vcc_lo, 0, v14
	v_cndmask_b32_e32 v14, v17, v16, vcc_lo
; %bb.33:                               ;   in Loop: Header=BB47_5 Depth=1
	s_or_b32 exec_lo, exec_lo, s3
	v_and_b32_e32 v4, 0xffff0000, v4
	v_and_b32_e32 v15, 0xffff0000, v15
	s_delay_alu instid0(VALU_DEP_1) | instskip(NEXT) | instid1(VALU_DEP_1)
	v_add_f32_e32 v15, v4, v15
	v_and_b32_e32 v4, 0x7f800000, v15
	s_delay_alu instid0(VALU_DEP_1) | instskip(SKIP_1) | instid1(SALU_CYCLE_1)
	v_cmp_ne_u32_e32 vcc_lo, 0x7f800000, v4
                                        ; implicit-def: $vgpr4
	s_and_saveexec_b32 s3, vcc_lo
	s_xor_b32 s3, exec_lo, s3
; %bb.34:                               ;   in Loop: Header=BB47_5 Depth=1
	v_bfe_u32 v4, v15, 16, 1
	s_delay_alu instid0(VALU_DEP_1)
	v_add3_u32 v4, v15, v4, 0x7fff
                                        ; implicit-def: $vgpr15
; %bb.35:                               ;   in Loop: Header=BB47_5 Depth=1
	s_and_not1_saveexec_b32 s3, s3
	s_cbranch_execz .LBB47_4
; %bb.36:                               ;   in Loop: Header=BB47_5 Depth=1
	v_and_b32_e32 v4, 0xffff, v15
	v_or_b32_e32 v16, 0x10000, v15
	s_delay_alu instid0(VALU_DEP_2) | instskip(NEXT) | instid1(VALU_DEP_2)
	v_cmp_eq_u32_e32 vcc_lo, 0, v4
	v_cndmask_b32_e32 v4, v16, v15, vcc_lo
	s_branch .LBB47_4
.LBB47_37:
	s_or_b32 exec_lo, exec_lo, s13
	v_mov_b32_e32 v1, s12
	v_mov_b32_e32 v9, s7
.LBB47_38:
	s_or_b32 exec_lo, exec_lo, s11
	v_mbcnt_lo_u32_b32 v2, -1, 0
	s_mov_b32 s3, exec_lo
	s_delay_alu instid0(VALU_DEP_1) | instskip(SKIP_2) | instid1(VALU_DEP_2)
	v_cmp_ne_u32_e32 vcc_lo, 31, v2
	v_add_co_ci_u32_e32 v3, vcc_lo, 0, v2, vcc_lo
	v_cmp_gt_u32_e32 vcc_lo, 30, v2
	v_lshlrev_b32_e32 v3, 2, v3
	v_cndmask_b32_e64 v6, 0, 1, vcc_lo
	ds_bpermute_b32 v5, v3, v10
	s_waitcnt lgkmcnt(0)
	v_dual_add_f32 v7, v10, v5 :: v_dual_and_b32 v4, 0x3e0, v0
	s_delay_alu instid0(VALU_DEP_1) | instskip(SKIP_1) | instid1(VALU_DEP_1)
	v_sub_nc_u32_e64 v14, v9, v4 clamp
	v_add_nc_u32_e32 v4, 1, v2
	v_cmp_lt_u32_e32 vcc_lo, v4, v14
	s_delay_alu instid0(VALU_DEP_4) | instskip(SKIP_2) | instid1(VALU_DEP_2)
	v_cndmask_b32_e32 v8, v10, v7, vcc_lo
	v_lshlrev_b32_e32 v6, 1, v6
	v_cmp_gt_u32_e32 vcc_lo, 28, v2
	v_add_lshl_u32 v5, v6, v2, 2
	v_cndmask_b32_e64 v6, 0, 1, vcc_lo
	ds_bpermute_b32 v7, v5, v8
	v_lshlrev_b32_e32 v10, 2, v6
	v_add_nc_u32_e32 v6, 2, v2
	s_delay_alu instid0(VALU_DEP_1) | instskip(SKIP_3) | instid1(VALU_DEP_2)
	v_cmp_lt_u32_e32 vcc_lo, v6, v14
	s_waitcnt lgkmcnt(0)
	v_add_f32_e32 v11, v8, v7
	v_add_lshl_u32 v7, v10, v2, 2
	v_cndmask_b32_e32 v11, v8, v11, vcc_lo
	v_cmp_gt_u32_e32 vcc_lo, 24, v2
	ds_bpermute_b32 v10, v7, v11
	v_cndmask_b32_e64 v8, 0, 1, vcc_lo
	s_delay_alu instid0(VALU_DEP_1) | instskip(SKIP_1) | instid1(VALU_DEP_1)
	v_lshlrev_b32_e32 v12, 3, v8
	v_add_nc_u32_e32 v8, 4, v2
	v_cmp_lt_u32_e32 vcc_lo, v8, v14
	s_waitcnt lgkmcnt(0)
	v_add_f32_e32 v13, v11, v10
	v_add_lshl_u32 v10, v12, v2, 2
	s_delay_alu instid0(VALU_DEP_2) | instskip(SKIP_3) | instid1(VALU_DEP_1)
	v_cndmask_b32_e32 v13, v11, v13, vcc_lo
	v_cmp_gt_u32_e32 vcc_lo, 16, v2
	ds_bpermute_b32 v12, v10, v13
	v_cndmask_b32_e64 v11, 0, 1, vcc_lo
	v_lshlrev_b32_e32 v15, 4, v11
	v_add_nc_u32_e32 v11, 8, v2
	s_delay_alu instid0(VALU_DEP_1) | instskip(SKIP_3) | instid1(VALU_DEP_2)
	v_cmp_lt_u32_e32 vcc_lo, v11, v14
	s_waitcnt lgkmcnt(0)
	v_add_f32_e32 v16, v13, v12
	v_add_lshl_u32 v12, v15, v2, 2
	v_cndmask_b32_e32 v15, v13, v16, vcc_lo
	ds_bpermute_b32 v16, v12, v15
	s_waitcnt lgkmcnt(0)
	v_dual_add_f32 v16, v15, v16 :: v_dual_add_nc_u32 v13, 16, v2
	s_delay_alu instid0(VALU_DEP_1) | instskip(NEXT) | instid1(VALU_DEP_2)
	v_cmp_lt_u32_e32 vcc_lo, v13, v14
	v_cndmask_b32_e32 v14, v15, v16, vcc_lo
	v_cmpx_eq_u32_e32 0, v2
	s_cbranch_execz .LBB47_40
; %bb.39:
	v_lshrrev_b32_e32 v15, 3, v0
	s_delay_alu instid0(VALU_DEP_1)
	v_and_b32_e32 v15, 0x7c, v15
	ds_store_b32 v15, v14
.LBB47_40:
	s_or_b32 exec_lo, exec_lo, s3
	s_delay_alu instid0(SALU_CYCLE_1)
	s_mov_b32 s3, exec_lo
	s_waitcnt lgkmcnt(0)
	s_waitcnt_vscnt null, 0x0
	s_barrier
	buffer_gl0_inv
	v_cmpx_gt_u32_e32 32, v0
	s_cbranch_execz .LBB47_42
; %bb.41:
	v_lshlrev_b32_e32 v2, 2, v2
	ds_load_b32 v2, v2
	s_waitcnt lgkmcnt(0)
	ds_bpermute_b32 v3, v3, v2
	s_waitcnt lgkmcnt(0)
	v_dual_add_f32 v3, v2, v3 :: v_dual_add_nc_u32 v14, 31, v9
	s_delay_alu instid0(VALU_DEP_1) | instskip(NEXT) | instid1(VALU_DEP_1)
	v_lshrrev_b32_e32 v14, 5, v14
	v_cmp_lt_u32_e32 vcc_lo, v4, v14
	s_delay_alu instid0(VALU_DEP_3) | instskip(SKIP_4) | instid1(VALU_DEP_1)
	v_cndmask_b32_e32 v2, v2, v3, vcc_lo
	v_cmp_lt_u32_e32 vcc_lo, v6, v14
	ds_bpermute_b32 v3, v5, v2
	s_waitcnt lgkmcnt(0)
	v_add_f32_e32 v3, v2, v3
	v_cndmask_b32_e32 v2, v2, v3, vcc_lo
	v_cmp_lt_u32_e32 vcc_lo, v8, v14
	ds_bpermute_b32 v3, v7, v2
	s_waitcnt lgkmcnt(0)
	v_add_f32_e32 v3, v2, v3
	s_delay_alu instid0(VALU_DEP_1) | instskip(SKIP_4) | instid1(VALU_DEP_1)
	v_cndmask_b32_e32 v2, v2, v3, vcc_lo
	v_cmp_lt_u32_e32 vcc_lo, v11, v14
	ds_bpermute_b32 v3, v10, v2
	s_waitcnt lgkmcnt(0)
	v_add_f32_e32 v3, v2, v3
	v_cndmask_b32_e32 v2, v2, v3, vcc_lo
	v_cmp_lt_u32_e32 vcc_lo, v13, v14
	ds_bpermute_b32 v3, v12, v2
	s_waitcnt lgkmcnt(0)
	v_add_f32_e32 v3, v2, v3
	s_delay_alu instid0(VALU_DEP_1)
	v_cndmask_b32_e32 v14, v2, v3, vcc_lo
.LBB47_42:
	s_or_b32 exec_lo, exec_lo, s3
	s_delay_alu instid0(SALU_CYCLE_1)
	s_mov_b32 s3, exec_lo
	v_cmpx_eq_u32_e32 0, v0
	s_cbranch_execz .LBB47_44
; %bb.43:
	v_cvt_f32_i32_e32 v2, s10
	s_load_b32 s0, s[0:1], 0x20
	s_delay_alu instid0(VALU_DEP_1) | instskip(SKIP_1) | instid1(VALU_DEP_2)
	v_div_scale_f32 v3, null, v2, v2, v14
	v_div_scale_f32 v6, vcc_lo, v14, v2, v14
	v_rcp_f32_e32 v4, v3
	s_waitcnt_depctr 0xfff
	v_fma_f32 v5, -v3, v4, 1.0
	s_delay_alu instid0(VALU_DEP_1) | instskip(NEXT) | instid1(VALU_DEP_1)
	v_fmac_f32_e32 v4, v5, v4
	v_mul_f32_e32 v5, v6, v4
	s_delay_alu instid0(VALU_DEP_1) | instskip(NEXT) | instid1(VALU_DEP_1)
	v_fma_f32 v7, -v3, v5, v6
	v_fmac_f32_e32 v5, v7, v4
	s_delay_alu instid0(VALU_DEP_1) | instskip(NEXT) | instid1(VALU_DEP_1)
	v_fma_f32 v3, -v3, v5, v6
	v_div_fmas_f32 v3, v3, v4, v5
	s_delay_alu instid0(VALU_DEP_1) | instskip(SKIP_1) | instid1(VALU_DEP_1)
	v_div_fixup_f32 v2, v3, v2, v14
	s_waitcnt lgkmcnt(0)
	v_add_f32_e32 v2, s0, v2
	s_delay_alu instid0(VALU_DEP_1) | instskip(SKIP_1) | instid1(VALU_DEP_2)
	v_mul_f32_e32 v3, 0x4b800000, v2
	v_cmp_gt_f32_e32 vcc_lo, 0x800000, v2
	v_cndmask_b32_e32 v2, v2, v3, vcc_lo
	s_delay_alu instid0(VALU_DEP_1) | instskip(SKIP_2) | instid1(VALU_DEP_1)
	v_rsq_f32_e32 v2, v2
	s_waitcnt_depctr 0xfff
	v_mul_f32_e32 v3, 0x45800000, v2
	v_dual_cndmask_b32 v2, v2, v3 :: v_dual_mov_b32 v3, 0
	ds_store_b32 v3, v2 offset:128
.LBB47_44:
	s_or_b32 exec_lo, exec_lo, s3
	s_waitcnt lgkmcnt(0)
	s_barrier
	buffer_gl0_inv
	s_and_saveexec_b32 s0, s2
	s_cbranch_execz .LBB47_118
; %bb.45:
	v_cvt_f32_u32_e32 v2, v9
	v_sub_nc_u32_e32 v3, 0, v9
	v_add_nc_u32_e32 v4, v0, v9
	s_add_i32 s7, s9, s8
	s_mov_b32 s25, exec_lo
	v_rcp_iflag_f32_e32 v2, v2
	s_lshl_b64 s[2:3], s[6:7], 4
	v_cmp_gt_i32_e64 s0, s17, v4
	v_max_i32_e32 v5, s17, v4
	s_add_u32 s22, s4, s2
	s_addc_u32 s23, s5, s3
	s_delay_alu instid0(VALU_DEP_2) | instskip(SKIP_3) | instid1(VALU_DEP_2)
	v_add_co_ci_u32_e64 v4, vcc_lo, v0, v9, s0
	s_waitcnt_depctr 0xfff
	v_mul_f32_e32 v2, 0x4f7ffffe, v2
	v_sub_nc_u32_e32 v4, v5, v4
	v_cvt_u32_f32_e32 v2, v2
	s_delay_alu instid0(VALU_DEP_1) | instskip(NEXT) | instid1(VALU_DEP_1)
	v_mul_lo_u32 v3, v3, v2
	v_mul_hi_u32 v3, v2, v3
	s_delay_alu instid0(VALU_DEP_1) | instskip(NEXT) | instid1(VALU_DEP_1)
	v_add_nc_u32_e32 v2, v2, v3
	v_mul_hi_u32 v2, v4, v2
	s_delay_alu instid0(VALU_DEP_1) | instskip(NEXT) | instid1(VALU_DEP_1)
	v_mul_lo_u32 v3, v2, v9
	v_sub_nc_u32_e32 v3, v4, v3
	v_add_nc_u32_e32 v4, 1, v2
	s_delay_alu instid0(VALU_DEP_2) | instskip(SKIP_1) | instid1(VALU_DEP_2)
	v_sub_nc_u32_e32 v5, v3, v9
	v_cmp_ge_u32_e32 vcc_lo, v3, v9
	v_dual_cndmask_b32 v3, v3, v5 :: v_dual_cndmask_b32 v2, v2, v4
	v_mov_b32_e32 v4, 0
	s_delay_alu instid0(VALU_DEP_2) | instskip(NEXT) | instid1(VALU_DEP_3)
	v_cmp_ge_u32_e32 vcc_lo, v3, v9
	v_add_nc_u32_e32 v5, 1, v2
	ds_load_b32 v19, v4 offset:128
	v_cndmask_b32_e32 v2, v2, v5, vcc_lo
	s_delay_alu instid0(VALU_DEP_1) | instskip(NEXT) | instid1(VALU_DEP_1)
	v_add_co_ci_u32_e64 v10, vcc_lo, 1, v2, s0
	v_cmp_gt_u32_e32 vcc_lo, 2, v10
	v_cmpx_lt_u32_e32 1, v10
	s_cbranch_execz .LBB47_51
; %bb.46:
	v_add_co_ci_u32_e64 v2, s0, 0, v2, s0
	v_add_nc_u32_e32 v3, s24, v0
	v_cmp_eq_u16_e64 s0, 1, v1
	s_delay_alu instid0(VALU_DEP_2) | instskip(NEXT) | instid1(VALU_DEP_1)
	v_add_nc_u32_e32 v2, v3, v2
	v_cmp_ge_i32_e64 s1, v2, v3
	s_delay_alu instid0(VALU_DEP_1)
	s_and_b32 s1, s0, s1
	s_mov_b32 s0, -1
	s_and_saveexec_b32 s26, s1
	s_cbranch_execz .LBB47_50
; %bb.47:
	v_mad_u32_u24 v1, v9, 1, v0
	v_dual_mov_b32 v2, 0 :: v_dual_and_b32 v11, -2, v10
	s_mov_b32 s28, s24
	s_mov_b32 s27, 0
	s_delay_alu instid0(VALU_DEP_2) | instskip(NEXT) | instid1(VALU_DEP_2)
	v_mov_b32_e32 v4, v1
	v_dual_mov_b32 v12, v11 :: v_dual_mov_b32 v3, v0
.LBB47_48:                              ; =>This Inner Loop Header: Depth=1
	s_delay_alu instid0(VALU_DEP_1) | instskip(SKIP_1) | instid1(VALU_DEP_4)
	v_dual_mov_b32 v1, v3 :: v_dual_add_nc_u32 v12, -2, v12
	v_add_nc_u32_e32 v7, s24, v3
	v_add_nc_u32_e32 v5, s28, v4
	s_delay_alu instid0(VALU_DEP_3) | instskip(NEXT) | instid1(VALU_DEP_4)
	v_lshlrev_b64 v[13:14], 4, v[1:2]
	v_cmp_eq_u32_e64 s0, 0, v12
	s_delay_alu instid0(VALU_DEP_4) | instskip(NEXT) | instid1(VALU_DEP_4)
	v_ashrrev_i32_e32 v8, 31, v7
	v_ashrrev_i32_e32 v6, 31, v5
	s_delay_alu instid0(VALU_DEP_3) | instskip(NEXT) | instid1(VALU_DEP_2)
	s_or_b32 s27, s0, s27
	v_lshlrev_b64 v[7:8], 4, v[7:8]
	v_add_co_u32 v20, s1, s20, v13
	s_delay_alu instid0(VALU_DEP_1) | instskip(SKIP_2) | instid1(VALU_DEP_1)
	v_add_co_ci_u32_e64 v21, s1, s21, v14, s1
	v_lshlrev_b64 v[15:16], 4, v[5:6]
	v_add_co_u32 v5, s1, s22, v13
	v_add_co_ci_u32_e64 v6, s1, s23, v14, s1
	v_add_co_u32 v22, s1, s18, v7
	s_delay_alu instid0(VALU_DEP_1) | instskip(SKIP_1) | instid1(VALU_DEP_1)
	v_add_co_ci_u32_e64 v23, s1, s19, v8, s1
	v_add_co_u32 v24, s1, s18, v15
	v_add_co_ci_u32_e64 v25, s1, s19, v16, s1
	global_load_b128 v[13:16], v[20:21], off
	v_dual_mov_b32 v1, v4 :: v_dual_add_nc_u32 v4, 2, v4
	s_delay_alu instid0(VALU_DEP_1) | instskip(NEXT) | instid1(VALU_DEP_1)
	v_lshlrev_b64 v[17:18], 4, v[1:2]
	v_add_co_u32 v28, s1, s20, v17
	s_delay_alu instid0(VALU_DEP_1)
	v_add_co_ci_u32_e64 v29, s1, s21, v18, s1
	s_clause 0x1
	global_load_b128 v[20:23], v[22:23], off
	global_load_b128 v[24:27], v[24:25], off
	;; [unrolled: 1-line block ×3, first 2 shown]
	v_add_co_u32 v7, s1, s22, v17
	s_delay_alu instid0(VALU_DEP_1)
	v_add_co_ci_u32_e64 v8, s1, s23, v18, s1
	s_waitcnt vmcnt(2)
	v_lshlrev_b32_e32 v39, 16, v22
	v_and_b32_e32 v22, 0xffff0000, v22
	v_lshlrev_b32_e32 v33, 16, v20
	v_and_b32_e32 v20, 0xffff0000, v20
	v_lshlrev_b32_e32 v42, 16, v23
	s_waitcnt vmcnt(1)
	v_lshlrev_b32_e32 v43, 16, v27
	v_and_b32_e32 v23, 0xffff0000, v23
	v_lshlrev_b32_e32 v36, 16, v21
	v_and_b32_e32 v21, 0xffff0000, v21
	v_lshlrev_b32_e32 v34, 16, v24
	s_waitcnt lgkmcnt(0)
	v_dual_mul_f32 v43, v19, v43 :: v_dual_and_b32 v24, 0xffff0000, v24
	v_mul_f32_e32 v22, v19, v22
	v_dual_mul_f32 v33, v19, v33 :: v_dual_lshlrev_b32 v18, 16, v15
	s_waitcnt vmcnt(0)
	v_lshlrev_b32_e32 v44, 16, v31
	v_dual_mul_f32 v24, v19, v24 :: v_dual_and_b32 v31, 0xffff0000, v31
	v_mul_f32_e32 v21, v19, v21
	v_mul_f32_e32 v39, v19, v39
	v_dual_mul_f32 v20, v19, v20 :: v_dual_add_nc_u32 v3, 2, v3
	v_dual_mul_f32 v23, v19, v23 :: v_dual_and_b32 v50, 0xffff, v33
	v_dual_mul_f32 v36, v19, v36 :: v_dual_lshlrev_b32 v1, 16, v13
	v_and_b32_e32 v45, 0x7f800000, v33
	v_bfe_u32 v47, v33, 16, 1
	v_or_b32_e32 v51, 0x10000, v33
	v_and_b32_e32 v57, 0xffff, v24
	v_and_b32_e32 v58, 0xffff, v20
	;; [unrolled: 1-line block ×3, first 2 shown]
	v_cmp_eq_u32_e64 s2, 0, v50
	v_and_b32_e32 v53, 0x7f800000, v20
	v_and_b32_e32 v54, 0x7f800000, v24
	v_bfe_u32 v55, v20, 16, 1
	v_bfe_u32 v56, v24, 16, 1
	v_or_b32_e32 v59, 0x10000, v20
	v_or_b32_e32 v60, 0x10000, v24
	v_and_b32_e32 v66, 0xffff, v36
	v_and_b32_e32 v69, 0x7f800000, v21
	v_bfe_u32 v71, v21, 16, 1
	v_or_b32_e32 v75, 0x10000, v21
	v_and_b32_e32 v82, 0xffff, v39
	v_add3_u32 v47, v33, v47, 0x7fff
	v_cndmask_b32_e64 v33, v51, v33, s2
	v_cmp_eq_u32_e64 s2, 0, v57
	v_cmp_eq_u32_e64 s3, 0, v58
	;; [unrolled: 1-line block ×4, first 2 shown]
	v_and_b32_e32 v61, 0x7f800000, v36
	v_bfe_u32 v63, v36, 16, 1
	v_or_b32_e32 v67, 0x10000, v36
	v_and_b32_e32 v77, 0x7f800000, v39
	v_bfe_u32 v79, v39, 16, 1
	v_or_b32_e32 v83, 0x10000, v39
	v_and_b32_e32 v90, 0xffff, v22
	v_add3_u32 v56, v24, v56, 0x7fff
	v_cndmask_b32_e64 v24, v60, v24, s2
	v_cmp_eq_u32_e64 s2, 0x7f800000, v54
	v_add3_u32 v55, v20, v55, 0x7fff
	v_cndmask_b32_e64 v20, v59, v20, s3
	v_cmp_eq_u32_e64 s3, 0x7f800000, v53
	v_cmp_eq_u32_e64 s5, 0, v66
	v_add3_u32 v66, v21, v71, 0x7fff
	v_cndmask_b32_e64 v21, v75, v21, s7
	v_cmp_eq_u32_e64 s7, 0x7f800000, v69
	v_cmp_eq_u32_e64 s9, 0, v82
	v_cndmask_b32_e64 v33, v47, v33, s16
	v_and_b32_e32 v27, 0xffff0000, v27
	v_and_b32_e32 v85, 0x7f800000, v22
	v_bfe_u32 v87, v22, 16, 1
	v_or_b32_e32 v91, 0x10000, v22
	v_add3_u32 v63, v36, v63, 0x7fff
	v_cndmask_b32_e64 v36, v67, v36, s5
	v_cmp_eq_u32_e64 s5, 0x7f800000, v61
	v_add3_u32 v69, v39, v79, 0x7fff
	v_cndmask_b32_e64 v39, v83, v39, s9
	v_cmp_eq_u32_e64 s9, 0x7f800000, v77
	v_cmp_eq_u32_e64 s11, 0, v90
	v_cndmask_b32_e64 v20, v55, v20, s3
	v_cndmask_b32_e64 v24, v56, v24, s2
	;; [unrolled: 1-line block ×3, first 2 shown]
	v_and_b32_e32 v33, 0xffff0000, v33
	v_dual_mul_f32 v42, v19, v42 :: v_dual_lshlrev_b32 v35, 16, v28
	v_dual_mul_f32 v27, v19, v27 :: v_dual_and_b32 v28, 0xffff0000, v28
	s_delay_alu instid0(VALU_DEP_3) | instskip(SKIP_2) | instid1(VALU_DEP_3)
	v_dual_mul_f32 v1, v33, v1 :: v_dual_lshlrev_b32 v40, 16, v26
	v_dual_mul_f32 v34, v19, v34 :: v_dual_and_b32 v13, 0xffff0000, v13
	v_add3_u32 v71, v22, v87, 0x7fff
	v_mul_f32_e32 v40, v19, v40
	v_cndmask_b32_e64 v22, v91, v22, s11
	v_cmp_eq_u32_e64 s11, 0x7f800000, v85
	v_cndmask_b32_e64 v36, v63, v36, s5
	v_cndmask_b32_e64 v39, v69, v39, s9
	v_and_b32_e32 v24, 0xffff0000, v24
	v_lshlrev_b32_e32 v17, 16, v14
	v_and_b32_e32 v14, 0xffff0000, v14
	v_and_b32_e32 v20, 0xffff0000, v20
	;; [unrolled: 1-line block ×3, first 2 shown]
	v_lshlrev_b32_e32 v37, 16, v25
	v_and_b32_e32 v49, 0xffff, v34
	v_cndmask_b32_e64 v22, v71, v22, s11
	v_and_b32_e32 v36, 0xffff0000, v36
	v_mul_f32_e32 v14, v21, v14
	v_dual_mul_f32 v37, v19, v37 :: v_dual_lshlrev_b32 v32, 16, v16
	v_and_b32_e32 v39, 0xffff0000, v39
	v_and_b32_e32 v25, 0xffff0000, v25
	v_mul_f32_e32 v13, v20, v13
	v_mul_f32_e32 v20, v24, v28
	v_dual_mul_f32 v17, v36, v17 :: v_dual_and_b32 v26, 0xffff0000, v26
	v_and_b32_e32 v15, 0xffff0000, v15
	v_bfe_u32 v48, v34, 16, 1
	v_or_b32_e32 v52, 0x10000, v34
	s_delay_alu instid0(VALU_DEP_4)
	v_dual_mul_f32 v26, v19, v26 :: v_dual_and_b32 v65, 0xffff, v37
	v_cmp_eq_u32_e64 s1, 0, v49
	v_and_b32_e32 v22, 0xffff0000, v22
	v_and_b32_e32 v46, 0x7f800000, v34
	v_mul_f32_e32 v18, v39, v18
	v_dual_mul_f32 v25, v19, v25 :: v_dual_and_b32 v16, 0xffff0000, v16
	v_bfe_u32 v64, v37, 16, 1
	v_or_b32_e32 v68, 0x10000, v37
	v_and_b32_e32 v89, 0xffff, v26
	v_add3_u32 v48, v34, v48, 0x7fff
	v_and_b32_e32 v73, 0xffff, v25
	v_cndmask_b32_e64 v34, v52, v34, s1
	v_and_b32_e32 v50, 0xffff, v42
	v_cmp_eq_u32_e64 s4, 0, v65
	v_and_b32_e32 v65, 0xffff, v23
	v_mul_f32_e32 v15, v22, v15
	v_cmp_eq_u32_e64 s1, 0x7f800000, v46
	v_and_b32_e32 v46, 0xffff, v43
	v_and_b32_e32 v62, 0x7f800000, v37
	;; [unrolled: 1-line block ×5, first 2 shown]
	v_bfe_u32 v72, v25, 16, 1
	v_or_b32_e32 v76, 0x10000, v25
	v_and_b32_e32 v86, 0x7f800000, v26
	v_bfe_u32 v88, v26, 16, 1
	v_or_b32_e32 v92, 0x10000, v26
	v_and_b32_e32 v93, 0x7f800000, v42
	v_and_b32_e32 v94, 0x7f800000, v43
	v_bfe_u32 v49, v42, 16, 1
	v_bfe_u32 v52, v43, 16, 1
	v_or_b32_e32 v51, 0x10000, v42
	v_or_b32_e32 v57, 0x10000, v43
	v_and_b32_e32 v60, 0x7f800000, v23
	v_bfe_u32 v58, v23, 16, 1
	v_add3_u32 v64, v37, v64, 0x7fff
	v_cndmask_b32_e64 v37, v68, v37, s4
	v_or_b32_e32 v68, 0x10000, v23
	v_cmp_eq_u32_e64 s6, 0, v73
	v_cmp_eq_u32_e64 s10, 0, v89
	;; [unrolled: 1-line block ×5, first 2 shown]
	v_and_b32_e32 v78, 0x7f800000, v40
	v_bfe_u32 v80, v40, 16, 1
	v_or_b32_e32 v84, 0x10000, v40
	v_and_b32_e32 v54, 0x7f800000, v27
	v_bfe_u32 v59, v27, 16, 1
	v_cmp_eq_u32_e64 s4, 0x7f800000, v62
	v_or_b32_e32 v62, 0x10000, v27
	v_cmp_eq_u32_e64 s8, 0, v81
	v_cmp_eq_u32_e64 s14, 0, v53
	v_add3_u32 v61, v25, v72, 0x7fff
	v_cndmask_b32_e64 v25, v76, v25, s6
	v_cmp_eq_u32_e64 s6, 0x7f800000, v70
	v_add3_u32 v70, v26, v88, 0x7fff
	v_cndmask_b32_e64 v26, v92, v26, s10
	v_cmp_eq_u32_e64 s10, 0x7f800000, v86
	v_add3_u32 v52, v43, v52, 0x7fff
	v_cndmask_b32_e64 v43, v57, v43, s12
	v_cmp_eq_u32_e64 s12, 0x7f800000, v94
	v_add3_u32 v46, v42, v49, 0x7fff
	v_cndmask_b32_e64 v42, v51, v42, s13
	v_cmp_eq_u32_e64 s13, 0x7f800000, v93
	v_add3_u32 v50, v23, v58, 0x7fff
	v_cndmask_b32_e64 v23, v68, v23, s15
	v_cmp_eq_u32_e64 s15, 0x7f800000, v60
	v_cndmask_b32_e64 v34, v48, v34, s1
	v_add3_u32 v67, v40, v80, 0x7fff
	v_cndmask_b32_e64 v40, v84, v40, s8
	v_cmp_eq_u32_e64 s8, 0x7f800000, v78
	v_add3_u32 v49, v27, v59, 0x7fff
	v_cndmask_b32_e64 v27, v62, v27, s14
	v_cmp_eq_u32_e64 s14, 0x7f800000, v54
	v_cndmask_b32_e64 v25, v61, v25, s6
	v_cndmask_b32_e64 v26, v70, v26, s10
	;; [unrolled: 1-line block ×5, first 2 shown]
	v_and_b32_e32 v34, 0xffff0000, v34
	v_cndmask_b32_e64 v37, v64, v37, s4
	v_cndmask_b32_e64 v40, v67, v40, s8
	;; [unrolled: 1-line block ×3, first 2 shown]
	s_delay_alu instid0(VALU_DEP_4)
	v_dual_mul_f32 v33, v34, v35 :: v_dual_lshlrev_b32 v38, 16, v29
	v_and_b32_e32 v25, 0xffff0000, v25
	v_and_b32_e32 v26, 0xffff0000, v26
	v_and_b32_e32 v43, 0xffff0000, v43
	v_lshlrev_b32_e32 v41, 16, v30
	v_and_b32_e32 v30, 0xffff0000, v30
	v_and_b32_e32 v42, 0xffff0000, v42
	;; [unrolled: 1-line block ×4, first 2 shown]
	s_delay_alu instid0(VALU_DEP_4)
	v_dual_mul_f32 v22, v26, v30 :: v_dual_and_b32 v37, 0xffff0000, v37
	v_and_b32_e32 v40, 0xffff0000, v40
	v_dual_mul_f32 v26, v42, v32 :: v_dual_and_b32 v27, 0xffff0000, v27
	v_mul_f32_e32 v16, v23, v16
	v_and_b32_e32 v32, 0xffff, v1
	v_and_b32_e32 v34, 0xffff, v33
	v_mul_f32_e32 v24, v37, v38
	v_dual_mul_f32 v21, v25, v29 :: v_dual_mul_f32 v28, v43, v44
	v_mul_f32_e32 v25, v40, v41
	v_mul_f32_e32 v23, v27, v31
	v_and_b32_e32 v29, 0x7f800000, v1
	v_bfe_u32 v30, v33, 16, 1
	v_bfe_u32 v31, v1, 16, 1
	v_or_b32_e32 v35, 0x10000, v33
	v_or_b32_e32 v36, 0x10000, v1
	v_and_b32_e32 v41, 0xffff, v13
	v_and_b32_e32 v49, 0xffff, v17
	;; [unrolled: 1-line block ×7, first 2 shown]
	v_cmp_eq_u32_e64 s1, 0, v32
	v_cmp_eq_u32_e64 s2, 0, v34
	v_and_b32_e32 v42, 0xffff, v20
	v_and_b32_e32 v50, 0xffff, v24
	;; [unrolled: 1-line block ×8, first 2 shown]
	v_bfe_u32 v40, v13, 16, 1
	v_or_b32_e32 v44, 0x10000, v13
	v_and_b32_e32 v46, 0x7f800000, v17
	v_bfe_u32 v48, v17, 16, 1
	v_or_b32_e32 v52, 0x10000, v17
	v_and_b32_e32 v54, 0x7f800000, v14
	;; [unrolled: 3-line block ×6, first 2 shown]
	v_bfe_u32 v88, v16, 16, 1
	v_or_b32_e32 v92, 0x10000, v16
	v_add3_u32 v31, v1, v31, 0x7fff
	v_cndmask_b32_e64 v1, v36, v1, s1
	v_cmp_eq_u32_e64 s1, 0x7f800000, v29
	v_add3_u32 v29, v33, v30, 0x7fff
	v_cndmask_b32_e64 v30, v35, v33, s2
	v_cmp_eq_u32_e64 s2, 0, v41
	v_cmp_eq_u32_e64 s4, 0, v49
	;; [unrolled: 1-line block ×7, first 2 shown]
	v_and_b32_e32 v27, 0x7f800000, v33
	v_and_b32_e32 v37, 0x7f800000, v20
	v_bfe_u32 v39, v20, 16, 1
	v_or_b32_e32 v43, 0x10000, v20
	v_and_b32_e32 v45, 0x7f800000, v24
	v_bfe_u32 v47, v24, 16, 1
	v_or_b32_e32 v51, 0x10000, v24
	;; [unrolled: 3-line block ×7, first 2 shown]
	v_cmp_eq_u32_e64 s3, 0, v42
	v_cmp_eq_u32_e64 s5, 0, v50
	;; [unrolled: 1-line block ×7, first 2 shown]
	v_add3_u32 v32, v13, v40, 0x7fff
	v_cndmask_b32_e64 v13, v44, v13, s2
	v_cmp_eq_u32_e64 s2, 0x7f800000, v38
	v_add3_u32 v34, v17, v48, 0x7fff
	v_cndmask_b32_e64 v17, v52, v17, s4
	v_cmp_eq_u32_e64 s4, 0x7f800000, v46
	;; [unrolled: 3-line block ×14, first 2 shown]
	v_cmp_eq_u32_e64 s16, 0x7f800000, v27
	v_cndmask_b32_e64 v1, v31, v1, s1
	v_cndmask_b32_e64 v13, v32, v13, s2
	;; [unrolled: 1-line block ×16, first 2 shown]
	v_perm_b32 v13, v13, v1, 0x7060302
	v_perm_b32 v14, v14, v17, 0x7060302
	;; [unrolled: 1-line block ×8, first 2 shown]
	s_clause 0x1
	global_store_b128 v[5:6], v[13:16], off
	global_store_b128 v[7:8], v[20:23], off
	s_and_not1_b32 exec_lo, exec_lo, s27
	s_cbranch_execnz .LBB47_48
; %bb.49:
	s_or_b32 exec_lo, exec_lo, s27
	v_mad_u64_u32 v[1:2], null, v11, v9, v[0:1]
	v_cmp_ne_u32_e64 s0, v10, v11
	s_delay_alu instid0(VALU_DEP_1) | instskip(NEXT) | instid1(VALU_DEP_2)
	s_or_not1_b32 s0, s0, exec_lo
	v_mov_b32_e32 v0, v1
.LBB47_50:
	s_or_b32 exec_lo, exec_lo, s26
	s_delay_alu instid0(SALU_CYCLE_1) | instskip(SKIP_1) | instid1(SALU_CYCLE_1)
	s_and_not1_b32 s1, vcc_lo, exec_lo
	s_and_b32 s0, s0, exec_lo
	s_or_b32 vcc_lo, s1, s0
.LBB47_51:
	s_or_b32 exec_lo, exec_lo, s25
	s_delay_alu instid0(SALU_CYCLE_1)
	s_and_b32 exec_lo, exec_lo, vcc_lo
	s_cbranch_execz .LBB47_118
; %bb.52:
	v_mov_b32_e32 v1, 0
	v_dual_mov_b32 v15, s22 :: v_dual_mov_b32 v16, s23
	s_mov_b32 s1, 0
	v_dual_mov_b32 v17, s20 :: v_dual_mov_b32 v18, s21
	s_delay_alu instid0(VALU_DEP_3) | instskip(SKIP_1) | instid1(VALU_DEP_2)
	v_mov_b32_e32 v10, v1
	v_lshlrev_b64 v[11:12], 4, v[0:1]
	v_lshlrev_b64 v[13:14], 4, v[9:10]
	s_branch .LBB47_54
.LBB47_53:                              ;   in Loop: Header=BB47_54 Depth=1
	s_or_b32 exec_lo, exec_lo, s0
	v_add_co_u32 v20, vcc_lo, v15, v11
	v_add_nc_u32_e32 v0, v0, v9
	v_add_co_ci_u32_e32 v21, vcc_lo, v16, v12, vcc_lo
	v_add_co_u32 v17, vcc_lo, v17, v13
	v_add_co_ci_u32_e32 v18, vcc_lo, v18, v14, vcc_lo
	s_delay_alu instid0(VALU_DEP_4)
	v_cmp_le_i32_e32 vcc_lo, s17, v0
	v_add_co_u32 v15, s0, v15, v13
	v_perm_b32 v4, v4, v7, 0x7060302
	v_perm_b32 v3, v3, v6, 0x7060302
	;; [unrolled: 1-line block ×4, first 2 shown]
	v_add_co_ci_u32_e64 v16, s0, v16, v14, s0
	s_or_b32 s1, vcc_lo, s1
	global_store_b128 v[20:21], v[1:4], off
	s_and_not1_b32 exec_lo, exec_lo, s1
	s_cbranch_execz .LBB47_118
.LBB47_54:                              ; =>This Inner Loop Header: Depth=1
	v_add_nc_u32_e32 v1, s24, v0
	s_delay_alu instid0(VALU_DEP_1) | instskip(NEXT) | instid1(VALU_DEP_1)
	v_ashrrev_i32_e32 v2, 31, v1
	v_lshlrev_b64 v[1:2], 4, v[1:2]
	s_delay_alu instid0(VALU_DEP_1) | instskip(NEXT) | instid1(VALU_DEP_2)
	v_add_co_u32 v1, vcc_lo, s18, v1
	v_add_co_ci_u32_e32 v2, vcc_lo, s19, v2, vcc_lo
	global_load_b128 v[5:8], v[1:2], off
	v_add_co_u32 v1, vcc_lo, v17, v11
	v_add_co_ci_u32_e32 v2, vcc_lo, v18, v12, vcc_lo
	global_load_b128 v[1:4], v[1:2], off
	s_waitcnt vmcnt(1)
	v_lshlrev_b32_e32 v10, 16, v5
	s_waitcnt lgkmcnt(0)
	s_delay_alu instid0(VALU_DEP_1) | instskip(NEXT) | instid1(VALU_DEP_1)
	v_mul_f32_e32 v10, v19, v10
	v_and_b32_e32 v20, 0x7f800000, v10
	s_delay_alu instid0(VALU_DEP_1) | instskip(SKIP_1) | instid1(SALU_CYCLE_1)
	v_cmp_ne_u32_e32 vcc_lo, 0x7f800000, v20
                                        ; implicit-def: $vgpr20
	s_and_saveexec_b32 s0, vcc_lo
	s_xor_b32 s0, exec_lo, s0
; %bb.55:                               ;   in Loop: Header=BB47_54 Depth=1
	v_bfe_u32 v20, v10, 16, 1
	s_delay_alu instid0(VALU_DEP_1)
	v_add3_u32 v20, v10, v20, 0x7fff
                                        ; implicit-def: $vgpr10
; %bb.56:                               ;   in Loop: Header=BB47_54 Depth=1
	s_and_not1_saveexec_b32 s0, s0
; %bb.57:                               ;   in Loop: Header=BB47_54 Depth=1
	v_and_b32_e32 v20, 0xffff, v10
	v_or_b32_e32 v21, 0x10000, v10
	s_delay_alu instid0(VALU_DEP_2) | instskip(NEXT) | instid1(VALU_DEP_2)
	v_cmp_eq_u32_e32 vcc_lo, 0, v20
	v_cndmask_b32_e32 v20, v21, v10, vcc_lo
; %bb.58:                               ;   in Loop: Header=BB47_54 Depth=1
	s_or_b32 exec_lo, exec_lo, s0
	s_delay_alu instid0(VALU_DEP_1) | instskip(SKIP_2) | instid1(VALU_DEP_1)
	v_and_b32_e32 v10, 0xffff0000, v20
	s_waitcnt vmcnt(0)
	v_lshlrev_b32_e32 v20, 16, v1
	v_mul_f32_e32 v20, v10, v20
	s_delay_alu instid0(VALU_DEP_1) | instskip(NEXT) | instid1(VALU_DEP_1)
	v_and_b32_e32 v10, 0x7f800000, v20
	v_cmp_ne_u32_e32 vcc_lo, 0x7f800000, v10
                                        ; implicit-def: $vgpr10
	s_and_saveexec_b32 s0, vcc_lo
	s_delay_alu instid0(SALU_CYCLE_1)
	s_xor_b32 s0, exec_lo, s0
; %bb.59:                               ;   in Loop: Header=BB47_54 Depth=1
	v_bfe_u32 v10, v20, 16, 1
	s_delay_alu instid0(VALU_DEP_1)
	v_add3_u32 v10, v20, v10, 0x7fff
                                        ; implicit-def: $vgpr20
; %bb.60:                               ;   in Loop: Header=BB47_54 Depth=1
	s_and_not1_saveexec_b32 s0, s0
; %bb.61:                               ;   in Loop: Header=BB47_54 Depth=1
	v_and_b32_e32 v10, 0xffff, v20
	v_or_b32_e32 v21, 0x10000, v20
	s_delay_alu instid0(VALU_DEP_2) | instskip(NEXT) | instid1(VALU_DEP_2)
	v_cmp_eq_u32_e32 vcc_lo, 0, v10
	v_cndmask_b32_e32 v10, v21, v20, vcc_lo
; %bb.62:                               ;   in Loop: Header=BB47_54 Depth=1
	s_or_b32 exec_lo, exec_lo, s0
	v_and_b32_e32 v5, 0xffff0000, v5
	s_delay_alu instid0(VALU_DEP_1) | instskip(NEXT) | instid1(VALU_DEP_1)
	v_mul_f32_e32 v5, v19, v5
	v_and_b32_e32 v20, 0x7f800000, v5
	s_delay_alu instid0(VALU_DEP_1) | instskip(SKIP_1) | instid1(SALU_CYCLE_1)
	v_cmp_ne_u32_e32 vcc_lo, 0x7f800000, v20
                                        ; implicit-def: $vgpr20
	s_and_saveexec_b32 s0, vcc_lo
	s_xor_b32 s0, exec_lo, s0
; %bb.63:                               ;   in Loop: Header=BB47_54 Depth=1
	v_bfe_u32 v20, v5, 16, 1
	s_delay_alu instid0(VALU_DEP_1)
	v_add3_u32 v20, v5, v20, 0x7fff
                                        ; implicit-def: $vgpr5
; %bb.64:                               ;   in Loop: Header=BB47_54 Depth=1
	s_and_not1_saveexec_b32 s0, s0
; %bb.65:                               ;   in Loop: Header=BB47_54 Depth=1
	v_and_b32_e32 v20, 0xffff, v5
	v_or_b32_e32 v21, 0x10000, v5
	s_delay_alu instid0(VALU_DEP_2) | instskip(NEXT) | instid1(VALU_DEP_2)
	v_cmp_eq_u32_e32 vcc_lo, 0, v20
	v_cndmask_b32_e32 v20, v21, v5, vcc_lo
; %bb.66:                               ;   in Loop: Header=BB47_54 Depth=1
	s_or_b32 exec_lo, exec_lo, s0
	s_delay_alu instid0(VALU_DEP_1) | instskip(SKIP_1) | instid1(VALU_DEP_1)
	v_and_b32_e32 v5, 0xffff0000, v20
	v_and_b32_e32 v1, 0xffff0000, v1
	v_mul_f32_e32 v5, v5, v1
	s_delay_alu instid0(VALU_DEP_1) | instskip(NEXT) | instid1(VALU_DEP_1)
	v_and_b32_e32 v1, 0x7f800000, v5
	v_cmp_ne_u32_e32 vcc_lo, 0x7f800000, v1
                                        ; implicit-def: $vgpr1
	s_and_saveexec_b32 s0, vcc_lo
	s_delay_alu instid0(SALU_CYCLE_1)
	s_xor_b32 s0, exec_lo, s0
; %bb.67:                               ;   in Loop: Header=BB47_54 Depth=1
	v_bfe_u32 v1, v5, 16, 1
	s_delay_alu instid0(VALU_DEP_1)
	v_add3_u32 v1, v5, v1, 0x7fff
                                        ; implicit-def: $vgpr5
; %bb.68:                               ;   in Loop: Header=BB47_54 Depth=1
	s_and_not1_saveexec_b32 s0, s0
; %bb.69:                               ;   in Loop: Header=BB47_54 Depth=1
	v_and_b32_e32 v1, 0xffff, v5
	v_or_b32_e32 v20, 0x10000, v5
	s_delay_alu instid0(VALU_DEP_2) | instskip(NEXT) | instid1(VALU_DEP_2)
	v_cmp_eq_u32_e32 vcc_lo, 0, v1
	v_cndmask_b32_e32 v1, v20, v5, vcc_lo
; %bb.70:                               ;   in Loop: Header=BB47_54 Depth=1
	s_or_b32 exec_lo, exec_lo, s0
	v_lshlrev_b32_e32 v5, 16, v6
	s_delay_alu instid0(VALU_DEP_1) | instskip(NEXT) | instid1(VALU_DEP_1)
	v_mul_f32_e32 v5, v19, v5
	v_and_b32_e32 v20, 0x7f800000, v5
	s_delay_alu instid0(VALU_DEP_1) | instskip(SKIP_1) | instid1(SALU_CYCLE_1)
	v_cmp_ne_u32_e32 vcc_lo, 0x7f800000, v20
                                        ; implicit-def: $vgpr20
	s_and_saveexec_b32 s0, vcc_lo
	s_xor_b32 s0, exec_lo, s0
; %bb.71:                               ;   in Loop: Header=BB47_54 Depth=1
	v_bfe_u32 v20, v5, 16, 1
	s_delay_alu instid0(VALU_DEP_1)
	v_add3_u32 v20, v5, v20, 0x7fff
                                        ; implicit-def: $vgpr5
; %bb.72:                               ;   in Loop: Header=BB47_54 Depth=1
	s_and_not1_saveexec_b32 s0, s0
; %bb.73:                               ;   in Loop: Header=BB47_54 Depth=1
	v_and_b32_e32 v20, 0xffff, v5
	v_or_b32_e32 v21, 0x10000, v5
	s_delay_alu instid0(VALU_DEP_2) | instskip(NEXT) | instid1(VALU_DEP_2)
	v_cmp_eq_u32_e32 vcc_lo, 0, v20
	v_cndmask_b32_e32 v20, v21, v5, vcc_lo
; %bb.74:                               ;   in Loop: Header=BB47_54 Depth=1
	s_or_b32 exec_lo, exec_lo, s0
	s_delay_alu instid0(VALU_DEP_1) | instskip(SKIP_1) | instid1(VALU_DEP_1)
	v_and_b32_e32 v5, 0xffff0000, v20
	v_lshlrev_b32_e32 v20, 16, v2
	v_mul_f32_e32 v20, v5, v20
	s_delay_alu instid0(VALU_DEP_1) | instskip(NEXT) | instid1(VALU_DEP_1)
	v_and_b32_e32 v5, 0x7f800000, v20
	v_cmp_ne_u32_e32 vcc_lo, 0x7f800000, v5
                                        ; implicit-def: $vgpr5
	s_and_saveexec_b32 s0, vcc_lo
	s_delay_alu instid0(SALU_CYCLE_1)
	s_xor_b32 s0, exec_lo, s0
; %bb.75:                               ;   in Loop: Header=BB47_54 Depth=1
	v_bfe_u32 v5, v20, 16, 1
	s_delay_alu instid0(VALU_DEP_1)
	v_add3_u32 v5, v20, v5, 0x7fff
                                        ; implicit-def: $vgpr20
; %bb.76:                               ;   in Loop: Header=BB47_54 Depth=1
	s_and_not1_saveexec_b32 s0, s0
; %bb.77:                               ;   in Loop: Header=BB47_54 Depth=1
	v_and_b32_e32 v5, 0xffff, v20
	v_or_b32_e32 v21, 0x10000, v20
	s_delay_alu instid0(VALU_DEP_2) | instskip(NEXT) | instid1(VALU_DEP_2)
	v_cmp_eq_u32_e32 vcc_lo, 0, v5
	v_cndmask_b32_e32 v5, v21, v20, vcc_lo
; %bb.78:                               ;   in Loop: Header=BB47_54 Depth=1
	s_or_b32 exec_lo, exec_lo, s0
	v_and_b32_e32 v6, 0xffff0000, v6
	s_delay_alu instid0(VALU_DEP_1) | instskip(NEXT) | instid1(VALU_DEP_1)
	v_mul_f32_e32 v6, v19, v6
	v_and_b32_e32 v20, 0x7f800000, v6
	s_delay_alu instid0(VALU_DEP_1) | instskip(SKIP_1) | instid1(SALU_CYCLE_1)
	v_cmp_ne_u32_e32 vcc_lo, 0x7f800000, v20
                                        ; implicit-def: $vgpr20
	s_and_saveexec_b32 s0, vcc_lo
	s_xor_b32 s0, exec_lo, s0
; %bb.79:                               ;   in Loop: Header=BB47_54 Depth=1
	v_bfe_u32 v20, v6, 16, 1
	s_delay_alu instid0(VALU_DEP_1)
	v_add3_u32 v20, v6, v20, 0x7fff
                                        ; implicit-def: $vgpr6
; %bb.80:                               ;   in Loop: Header=BB47_54 Depth=1
	s_and_not1_saveexec_b32 s0, s0
; %bb.81:                               ;   in Loop: Header=BB47_54 Depth=1
	v_and_b32_e32 v20, 0xffff, v6
	v_or_b32_e32 v21, 0x10000, v6
	s_delay_alu instid0(VALU_DEP_2) | instskip(NEXT) | instid1(VALU_DEP_2)
	v_cmp_eq_u32_e32 vcc_lo, 0, v20
	v_cndmask_b32_e32 v20, v21, v6, vcc_lo
; %bb.82:                               ;   in Loop: Header=BB47_54 Depth=1
	s_or_b32 exec_lo, exec_lo, s0
	s_delay_alu instid0(VALU_DEP_1) | instskip(SKIP_1) | instid1(VALU_DEP_1)
	v_and_b32_e32 v6, 0xffff0000, v20
	v_and_b32_e32 v2, 0xffff0000, v2
	v_mul_f32_e32 v6, v6, v2
	s_delay_alu instid0(VALU_DEP_1) | instskip(NEXT) | instid1(VALU_DEP_1)
	v_and_b32_e32 v2, 0x7f800000, v6
	v_cmp_ne_u32_e32 vcc_lo, 0x7f800000, v2
                                        ; implicit-def: $vgpr2
	s_and_saveexec_b32 s0, vcc_lo
	s_delay_alu instid0(SALU_CYCLE_1)
	s_xor_b32 s0, exec_lo, s0
; %bb.83:                               ;   in Loop: Header=BB47_54 Depth=1
	v_bfe_u32 v2, v6, 16, 1
	s_delay_alu instid0(VALU_DEP_1)
	v_add3_u32 v2, v6, v2, 0x7fff
                                        ; implicit-def: $vgpr6
; %bb.84:                               ;   in Loop: Header=BB47_54 Depth=1
	s_and_not1_saveexec_b32 s0, s0
; %bb.85:                               ;   in Loop: Header=BB47_54 Depth=1
	v_and_b32_e32 v2, 0xffff, v6
	v_or_b32_e32 v20, 0x10000, v6
	s_delay_alu instid0(VALU_DEP_2) | instskip(NEXT) | instid1(VALU_DEP_2)
	v_cmp_eq_u32_e32 vcc_lo, 0, v2
	v_cndmask_b32_e32 v2, v20, v6, vcc_lo
; %bb.86:                               ;   in Loop: Header=BB47_54 Depth=1
	s_or_b32 exec_lo, exec_lo, s0
	v_lshlrev_b32_e32 v6, 16, v7
	s_delay_alu instid0(VALU_DEP_1) | instskip(NEXT) | instid1(VALU_DEP_1)
	v_mul_f32_e32 v6, v19, v6
	v_and_b32_e32 v20, 0x7f800000, v6
	s_delay_alu instid0(VALU_DEP_1) | instskip(SKIP_1) | instid1(SALU_CYCLE_1)
	v_cmp_ne_u32_e32 vcc_lo, 0x7f800000, v20
                                        ; implicit-def: $vgpr20
	s_and_saveexec_b32 s0, vcc_lo
	s_xor_b32 s0, exec_lo, s0
; %bb.87:                               ;   in Loop: Header=BB47_54 Depth=1
	v_bfe_u32 v20, v6, 16, 1
	s_delay_alu instid0(VALU_DEP_1)
	v_add3_u32 v20, v6, v20, 0x7fff
                                        ; implicit-def: $vgpr6
; %bb.88:                               ;   in Loop: Header=BB47_54 Depth=1
	s_and_not1_saveexec_b32 s0, s0
; %bb.89:                               ;   in Loop: Header=BB47_54 Depth=1
	v_and_b32_e32 v20, 0xffff, v6
	v_or_b32_e32 v21, 0x10000, v6
	s_delay_alu instid0(VALU_DEP_2) | instskip(NEXT) | instid1(VALU_DEP_2)
	v_cmp_eq_u32_e32 vcc_lo, 0, v20
	v_cndmask_b32_e32 v20, v21, v6, vcc_lo
; %bb.90:                               ;   in Loop: Header=BB47_54 Depth=1
	s_or_b32 exec_lo, exec_lo, s0
	s_delay_alu instid0(VALU_DEP_1) | instskip(SKIP_1) | instid1(VALU_DEP_1)
	v_and_b32_e32 v6, 0xffff0000, v20
	v_lshlrev_b32_e32 v20, 16, v3
	v_mul_f32_e32 v20, v6, v20
	s_delay_alu instid0(VALU_DEP_1) | instskip(NEXT) | instid1(VALU_DEP_1)
	v_and_b32_e32 v6, 0x7f800000, v20
	v_cmp_ne_u32_e32 vcc_lo, 0x7f800000, v6
                                        ; implicit-def: $vgpr6
	s_and_saveexec_b32 s0, vcc_lo
	s_delay_alu instid0(SALU_CYCLE_1)
	s_xor_b32 s0, exec_lo, s0
; %bb.91:                               ;   in Loop: Header=BB47_54 Depth=1
	v_bfe_u32 v6, v20, 16, 1
	s_delay_alu instid0(VALU_DEP_1)
	v_add3_u32 v6, v20, v6, 0x7fff
                                        ; implicit-def: $vgpr20
; %bb.92:                               ;   in Loop: Header=BB47_54 Depth=1
	s_and_not1_saveexec_b32 s0, s0
; %bb.93:                               ;   in Loop: Header=BB47_54 Depth=1
	v_and_b32_e32 v6, 0xffff, v20
	v_or_b32_e32 v21, 0x10000, v20
	s_delay_alu instid0(VALU_DEP_2) | instskip(NEXT) | instid1(VALU_DEP_2)
	v_cmp_eq_u32_e32 vcc_lo, 0, v6
	v_cndmask_b32_e32 v6, v21, v20, vcc_lo
; %bb.94:                               ;   in Loop: Header=BB47_54 Depth=1
	s_or_b32 exec_lo, exec_lo, s0
	v_and_b32_e32 v7, 0xffff0000, v7
	s_delay_alu instid0(VALU_DEP_1) | instskip(NEXT) | instid1(VALU_DEP_1)
	v_mul_f32_e32 v7, v19, v7
	v_and_b32_e32 v20, 0x7f800000, v7
	s_delay_alu instid0(VALU_DEP_1) | instskip(SKIP_1) | instid1(SALU_CYCLE_1)
	v_cmp_ne_u32_e32 vcc_lo, 0x7f800000, v20
                                        ; implicit-def: $vgpr20
	s_and_saveexec_b32 s0, vcc_lo
	s_xor_b32 s0, exec_lo, s0
; %bb.95:                               ;   in Loop: Header=BB47_54 Depth=1
	v_bfe_u32 v20, v7, 16, 1
	s_delay_alu instid0(VALU_DEP_1)
	v_add3_u32 v20, v7, v20, 0x7fff
                                        ; implicit-def: $vgpr7
; %bb.96:                               ;   in Loop: Header=BB47_54 Depth=1
	s_and_not1_saveexec_b32 s0, s0
; %bb.97:                               ;   in Loop: Header=BB47_54 Depth=1
	v_and_b32_e32 v20, 0xffff, v7
	v_or_b32_e32 v21, 0x10000, v7
	s_delay_alu instid0(VALU_DEP_2) | instskip(NEXT) | instid1(VALU_DEP_2)
	v_cmp_eq_u32_e32 vcc_lo, 0, v20
	v_cndmask_b32_e32 v20, v21, v7, vcc_lo
; %bb.98:                               ;   in Loop: Header=BB47_54 Depth=1
	s_or_b32 exec_lo, exec_lo, s0
	s_delay_alu instid0(VALU_DEP_1) | instskip(SKIP_1) | instid1(VALU_DEP_1)
	v_and_b32_e32 v7, 0xffff0000, v20
	v_and_b32_e32 v3, 0xffff0000, v3
	v_mul_f32_e32 v7, v7, v3
	s_delay_alu instid0(VALU_DEP_1) | instskip(NEXT) | instid1(VALU_DEP_1)
	v_and_b32_e32 v3, 0x7f800000, v7
	v_cmp_ne_u32_e32 vcc_lo, 0x7f800000, v3
                                        ; implicit-def: $vgpr3
	s_and_saveexec_b32 s0, vcc_lo
	s_delay_alu instid0(SALU_CYCLE_1)
	s_xor_b32 s0, exec_lo, s0
; %bb.99:                               ;   in Loop: Header=BB47_54 Depth=1
	v_bfe_u32 v3, v7, 16, 1
	s_delay_alu instid0(VALU_DEP_1)
	v_add3_u32 v3, v7, v3, 0x7fff
                                        ; implicit-def: $vgpr7
; %bb.100:                              ;   in Loop: Header=BB47_54 Depth=1
	s_and_not1_saveexec_b32 s0, s0
; %bb.101:                              ;   in Loop: Header=BB47_54 Depth=1
	v_and_b32_e32 v3, 0xffff, v7
	v_or_b32_e32 v20, 0x10000, v7
	s_delay_alu instid0(VALU_DEP_2) | instskip(NEXT) | instid1(VALU_DEP_2)
	v_cmp_eq_u32_e32 vcc_lo, 0, v3
	v_cndmask_b32_e32 v3, v20, v7, vcc_lo
; %bb.102:                              ;   in Loop: Header=BB47_54 Depth=1
	s_or_b32 exec_lo, exec_lo, s0
	v_lshlrev_b32_e32 v7, 16, v8
	s_delay_alu instid0(VALU_DEP_1) | instskip(NEXT) | instid1(VALU_DEP_1)
	v_mul_f32_e32 v7, v19, v7
	v_and_b32_e32 v20, 0x7f800000, v7
	s_delay_alu instid0(VALU_DEP_1) | instskip(SKIP_1) | instid1(SALU_CYCLE_1)
	v_cmp_ne_u32_e32 vcc_lo, 0x7f800000, v20
                                        ; implicit-def: $vgpr20
	s_and_saveexec_b32 s0, vcc_lo
	s_xor_b32 s0, exec_lo, s0
; %bb.103:                              ;   in Loop: Header=BB47_54 Depth=1
	v_bfe_u32 v20, v7, 16, 1
	s_delay_alu instid0(VALU_DEP_1)
	v_add3_u32 v20, v7, v20, 0x7fff
                                        ; implicit-def: $vgpr7
; %bb.104:                              ;   in Loop: Header=BB47_54 Depth=1
	s_and_not1_saveexec_b32 s0, s0
; %bb.105:                              ;   in Loop: Header=BB47_54 Depth=1
	v_and_b32_e32 v20, 0xffff, v7
	v_or_b32_e32 v21, 0x10000, v7
	s_delay_alu instid0(VALU_DEP_2) | instskip(NEXT) | instid1(VALU_DEP_2)
	v_cmp_eq_u32_e32 vcc_lo, 0, v20
	v_cndmask_b32_e32 v20, v21, v7, vcc_lo
; %bb.106:                              ;   in Loop: Header=BB47_54 Depth=1
	s_or_b32 exec_lo, exec_lo, s0
	s_delay_alu instid0(VALU_DEP_1) | instskip(SKIP_1) | instid1(VALU_DEP_1)
	v_and_b32_e32 v7, 0xffff0000, v20
	v_lshlrev_b32_e32 v20, 16, v4
	v_mul_f32_e32 v20, v7, v20
	s_delay_alu instid0(VALU_DEP_1) | instskip(NEXT) | instid1(VALU_DEP_1)
	v_and_b32_e32 v7, 0x7f800000, v20
	v_cmp_ne_u32_e32 vcc_lo, 0x7f800000, v7
                                        ; implicit-def: $vgpr7
	s_and_saveexec_b32 s0, vcc_lo
	s_delay_alu instid0(SALU_CYCLE_1)
	s_xor_b32 s0, exec_lo, s0
; %bb.107:                              ;   in Loop: Header=BB47_54 Depth=1
	v_bfe_u32 v7, v20, 16, 1
	s_delay_alu instid0(VALU_DEP_1)
	v_add3_u32 v7, v20, v7, 0x7fff
                                        ; implicit-def: $vgpr20
; %bb.108:                              ;   in Loop: Header=BB47_54 Depth=1
	s_and_not1_saveexec_b32 s0, s0
; %bb.109:                              ;   in Loop: Header=BB47_54 Depth=1
	v_and_b32_e32 v7, 0xffff, v20
	v_or_b32_e32 v21, 0x10000, v20
	s_delay_alu instid0(VALU_DEP_2) | instskip(NEXT) | instid1(VALU_DEP_2)
	v_cmp_eq_u32_e32 vcc_lo, 0, v7
	v_cndmask_b32_e32 v7, v21, v20, vcc_lo
; %bb.110:                              ;   in Loop: Header=BB47_54 Depth=1
	s_or_b32 exec_lo, exec_lo, s0
	v_and_b32_e32 v8, 0xffff0000, v8
	s_delay_alu instid0(VALU_DEP_1) | instskip(NEXT) | instid1(VALU_DEP_1)
	v_mul_f32_e32 v8, v19, v8
	v_and_b32_e32 v20, 0x7f800000, v8
	s_delay_alu instid0(VALU_DEP_1) | instskip(SKIP_1) | instid1(SALU_CYCLE_1)
	v_cmp_ne_u32_e32 vcc_lo, 0x7f800000, v20
                                        ; implicit-def: $vgpr20
	s_and_saveexec_b32 s0, vcc_lo
	s_xor_b32 s0, exec_lo, s0
; %bb.111:                              ;   in Loop: Header=BB47_54 Depth=1
	v_bfe_u32 v20, v8, 16, 1
	s_delay_alu instid0(VALU_DEP_1)
	v_add3_u32 v20, v8, v20, 0x7fff
                                        ; implicit-def: $vgpr8
; %bb.112:                              ;   in Loop: Header=BB47_54 Depth=1
	s_and_not1_saveexec_b32 s0, s0
; %bb.113:                              ;   in Loop: Header=BB47_54 Depth=1
	v_and_b32_e32 v20, 0xffff, v8
	v_or_b32_e32 v21, 0x10000, v8
	s_delay_alu instid0(VALU_DEP_2) | instskip(NEXT) | instid1(VALU_DEP_2)
	v_cmp_eq_u32_e32 vcc_lo, 0, v20
	v_cndmask_b32_e32 v20, v21, v8, vcc_lo
; %bb.114:                              ;   in Loop: Header=BB47_54 Depth=1
	s_or_b32 exec_lo, exec_lo, s0
	s_delay_alu instid0(VALU_DEP_1) | instskip(SKIP_1) | instid1(VALU_DEP_1)
	v_and_b32_e32 v8, 0xffff0000, v20
	v_and_b32_e32 v4, 0xffff0000, v4
	v_mul_f32_e32 v8, v8, v4
	s_delay_alu instid0(VALU_DEP_1) | instskip(NEXT) | instid1(VALU_DEP_1)
	v_and_b32_e32 v4, 0x7f800000, v8
	v_cmp_ne_u32_e32 vcc_lo, 0x7f800000, v4
                                        ; implicit-def: $vgpr4
	s_and_saveexec_b32 s0, vcc_lo
	s_delay_alu instid0(SALU_CYCLE_1)
	s_xor_b32 s0, exec_lo, s0
; %bb.115:                              ;   in Loop: Header=BB47_54 Depth=1
	v_bfe_u32 v4, v8, 16, 1
	s_delay_alu instid0(VALU_DEP_1)
	v_add3_u32 v4, v8, v4, 0x7fff
                                        ; implicit-def: $vgpr8
; %bb.116:                              ;   in Loop: Header=BB47_54 Depth=1
	s_and_not1_saveexec_b32 s0, s0
	s_cbranch_execz .LBB47_53
; %bb.117:                              ;   in Loop: Header=BB47_54 Depth=1
	v_and_b32_e32 v4, 0xffff, v8
	v_or_b32_e32 v20, 0x10000, v8
	s_delay_alu instid0(VALU_DEP_2) | instskip(NEXT) | instid1(VALU_DEP_2)
	v_cmp_eq_u32_e32 vcc_lo, 0, v4
	v_cndmask_b32_e32 v4, v20, v8, vcc_lo
	s_branch .LBB47_53
.LBB47_118:
	s_nop 0
	s_sendmsg sendmsg(MSG_DEALLOC_VGPRS)
	s_endpgm
	.section	.rodata,"a",@progbits
	.p2align	6, 0x0
	.amdhsa_kernel _ZN4vllm25fused_add_rms_norm_kernelIN3c108BFloat16ELi8EEENSt9enable_ifIXaagtT0_Li0Esr12_typeConvertIT_EE6existsEvE4typeEPS4_lS7_PKS4_fii
		.amdhsa_group_segment_fixed_size 132
		.amdhsa_private_segment_fixed_size 0
		.amdhsa_kernarg_size 304
		.amdhsa_user_sgpr_count 15
		.amdhsa_user_sgpr_dispatch_ptr 0
		.amdhsa_user_sgpr_queue_ptr 0
		.amdhsa_user_sgpr_kernarg_segment_ptr 1
		.amdhsa_user_sgpr_dispatch_id 0
		.amdhsa_user_sgpr_private_segment_size 0
		.amdhsa_wavefront_size32 1
		.amdhsa_uses_dynamic_stack 0
		.amdhsa_enable_private_segment 0
		.amdhsa_system_sgpr_workgroup_id_x 1
		.amdhsa_system_sgpr_workgroup_id_y 0
		.amdhsa_system_sgpr_workgroup_id_z 0
		.amdhsa_system_sgpr_workgroup_info 0
		.amdhsa_system_vgpr_workitem_id 0
		.amdhsa_next_free_vgpr 95
		.amdhsa_next_free_sgpr 29
		.amdhsa_reserve_vcc 1
		.amdhsa_float_round_mode_32 0
		.amdhsa_float_round_mode_16_64 0
		.amdhsa_float_denorm_mode_32 3
		.amdhsa_float_denorm_mode_16_64 3
		.amdhsa_dx10_clamp 1
		.amdhsa_ieee_mode 1
		.amdhsa_fp16_overflow 0
		.amdhsa_workgroup_processor_mode 1
		.amdhsa_memory_ordered 1
		.amdhsa_forward_progress 0
		.amdhsa_shared_vgpr_count 0
		.amdhsa_exception_fp_ieee_invalid_op 0
		.amdhsa_exception_fp_denorm_src 0
		.amdhsa_exception_fp_ieee_div_zero 0
		.amdhsa_exception_fp_ieee_overflow 0
		.amdhsa_exception_fp_ieee_underflow 0
		.amdhsa_exception_fp_ieee_inexact 0
		.amdhsa_exception_int_div_zero 0
	.end_amdhsa_kernel
	.section	.text._ZN4vllm25fused_add_rms_norm_kernelIN3c108BFloat16ELi8EEENSt9enable_ifIXaagtT0_Li0Esr12_typeConvertIT_EE6existsEvE4typeEPS4_lS7_PKS4_fii,"axG",@progbits,_ZN4vllm25fused_add_rms_norm_kernelIN3c108BFloat16ELi8EEENSt9enable_ifIXaagtT0_Li0Esr12_typeConvertIT_EE6existsEvE4typeEPS4_lS7_PKS4_fii,comdat
.Lfunc_end47:
	.size	_ZN4vllm25fused_add_rms_norm_kernelIN3c108BFloat16ELi8EEENSt9enable_ifIXaagtT0_Li0Esr12_typeConvertIT_EE6existsEvE4typeEPS4_lS7_PKS4_fii, .Lfunc_end47-_ZN4vllm25fused_add_rms_norm_kernelIN3c108BFloat16ELi8EEENSt9enable_ifIXaagtT0_Li0Esr12_typeConvertIT_EE6existsEvE4typeEPS4_lS7_PKS4_fii
                                        ; -- End function
	.section	.AMDGPU.csdata,"",@progbits
; Kernel info:
; codeLenInByte = 8012
; NumSgprs: 31
; NumVgprs: 95
; ScratchSize: 0
; MemoryBound: 0
; FloatMode: 240
; IeeeMode: 1
; LDSByteSize: 132 bytes/workgroup (compile time only)
; SGPRBlocks: 3
; VGPRBlocks: 11
; NumSGPRsForWavesPerEU: 31
; NumVGPRsForWavesPerEU: 95
; Occupancy: 16
; WaveLimiterHint : 0
; COMPUTE_PGM_RSRC2:SCRATCH_EN: 0
; COMPUTE_PGM_RSRC2:USER_SGPR: 15
; COMPUTE_PGM_RSRC2:TRAP_HANDLER: 0
; COMPUTE_PGM_RSRC2:TGID_X_EN: 1
; COMPUTE_PGM_RSRC2:TGID_Y_EN: 0
; COMPUTE_PGM_RSRC2:TGID_Z_EN: 0
; COMPUTE_PGM_RSRC2:TIDIG_COMP_CNT: 0
	.section	.text._ZN4vllm25fused_add_rms_norm_kernelIfLi0EEENSt9enable_ifIXooeqT0_Li0Entsr12_typeConvertIT_EE6existsEvE4typeEPS2_lS5_PKS2_fii,"axG",@progbits,_ZN4vllm25fused_add_rms_norm_kernelIfLi0EEENSt9enable_ifIXooeqT0_Li0Entsr12_typeConvertIT_EE6existsEvE4typeEPS2_lS5_PKS2_fii,comdat
	.protected	_ZN4vllm25fused_add_rms_norm_kernelIfLi0EEENSt9enable_ifIXooeqT0_Li0Entsr12_typeConvertIT_EE6existsEvE4typeEPS2_lS5_PKS2_fii ; -- Begin function _ZN4vllm25fused_add_rms_norm_kernelIfLi0EEENSt9enable_ifIXooeqT0_Li0Entsr12_typeConvertIT_EE6existsEvE4typeEPS2_lS5_PKS2_fii
	.globl	_ZN4vllm25fused_add_rms_norm_kernelIfLi0EEENSt9enable_ifIXooeqT0_Li0Entsr12_typeConvertIT_EE6existsEvE4typeEPS2_lS5_PKS2_fii
	.p2align	8
	.type	_ZN4vllm25fused_add_rms_norm_kernelIfLi0EEENSt9enable_ifIXooeqT0_Li0Entsr12_typeConvertIT_EE6existsEvE4typeEPS2_lS5_PKS2_fii,@function
_ZN4vllm25fused_add_rms_norm_kernelIfLi0EEENSt9enable_ifIXooeqT0_Li0Entsr12_typeConvertIT_EE6existsEvE4typeEPS2_lS5_PKS2_fii: ; @_ZN4vllm25fused_add_rms_norm_kernelIfLi0EEENSt9enable_ifIXooeqT0_Li0Entsr12_typeConvertIT_EE6existsEvE4typeEPS2_lS5_PKS2_fii
; %bb.0:
	s_clause 0x2
	s_load_b32 s3, s[0:1], 0x28
	s_load_b128 s[4:7], s[0:1], 0x0
	s_load_b64 s[8:9], s[0:1], 0x10
	s_mov_b32 s10, exec_lo
                                        ; implicit-def: $sgpr13
                                        ; implicit-def: $sgpr12
	s_waitcnt lgkmcnt(0)
	v_cmp_gt_i32_e64 s2, s3, v0
	v_cmpx_le_i32_e64 s3, v0
	s_xor_b32 s10, exec_lo, s10
	s_cbranch_execz .LBB48_2
; %bb.1:
	s_load_b32 s11, s[0:1], 0x3c
	s_mov_b32 s13, 0
	s_waitcnt lgkmcnt(0)
	s_and_b32 s12, s11, 0xffff
.LBB48_2:
	s_or_saveexec_b32 s16, s10
	s_load_b64 s[10:11], s[0:1], 0x18
	v_dual_mov_b32 v5, s13 :: v_dual_mov_b32 v4, s12
	s_mul_i32 s12, s15, s3
	s_mul_i32 s13, s15, s7
	s_mul_hi_u32 s14, s15, s6
	s_mul_i32 s6, s15, s6
	s_xor_b32 exec_lo, exec_lo, s16
	s_cbranch_execz .LBB48_6
; %bb.3:
	s_load_b32 s20, s[0:1], 0x3c
	s_add_i32 s7, s14, s13
	v_dual_mov_b32 v2, 0 :: v_dual_mov_b32 v5, 0
	s_lshl_b64 s[18:19], s[6:7], 2
	v_mov_b32_e32 v3, v0
	s_add_u32 s15, s4, s18
	s_addc_u32 s17, s5, s19
	s_mov_b32 s18, 0
	s_waitcnt lgkmcnt(0)
	s_and_b32 s7, s20, 0xffff
	.p2align	6
.LBB48_4:                               ; =>This Inner Loop Header: Depth=1
	v_ashrrev_i32_e32 v4, 31, v3
	v_add_nc_u32_e32 v1, s12, v3
	s_delay_alu instid0(VALU_DEP_2) | instskip(NEXT) | instid1(VALU_DEP_2)
	v_lshlrev_b64 v[6:7], 2, v[3:4]
	v_lshlrev_b64 v[8:9], 2, v[1:2]
	v_add_nc_u32_e32 v3, s7, v3
	s_delay_alu instid0(VALU_DEP_3) | instskip(NEXT) | instid1(VALU_DEP_4)
	v_add_co_u32 v6, vcc_lo, s15, v6
	v_add_co_ci_u32_e32 v7, vcc_lo, s17, v7, vcc_lo
	s_delay_alu instid0(VALU_DEP_4)
	v_add_co_u32 v8, vcc_lo, s8, v8
	v_add_co_ci_u32_e32 v9, vcc_lo, s9, v9, vcc_lo
	v_cmp_le_i32_e32 vcc_lo, s3, v3
	global_load_b32 v1, v[6:7], off
	global_load_b32 v4, v[8:9], off
	s_or_b32 s18, vcc_lo, s18
	s_waitcnt vmcnt(0)
	v_add_f32_e32 v1, v1, v4
	s_delay_alu instid0(VALU_DEP_1)
	v_fmac_f32_e32 v5, v1, v1
	global_store_b32 v[8:9], v1, off
	s_and_not1_b32 exec_lo, exec_lo, s18
	s_cbranch_execnz .LBB48_4
; %bb.5:
	s_or_b32 exec_lo, exec_lo, s18
	v_mov_b32_e32 v4, s7
.LBB48_6:
	s_or_b32 exec_lo, exec_lo, s16
	v_mbcnt_lo_u32_b32 v1, -1, 0
	s_mov_b32 s7, exec_lo
	s_delay_alu instid0(VALU_DEP_1) | instskip(SKIP_2) | instid1(VALU_DEP_2)
	v_cmp_ne_u32_e32 vcc_lo, 31, v1
	v_add_co_ci_u32_e32 v2, vcc_lo, 0, v1, vcc_lo
	v_cmp_gt_u32_e32 vcc_lo, 30, v1
	v_lshlrev_b32_e32 v2, 2, v2
	v_cndmask_b32_e64 v7, 0, 1, vcc_lo
	ds_bpermute_b32 v6, v2, v5
	s_waitcnt lgkmcnt(0)
	v_dual_add_f32 v8, v5, v6 :: v_dual_and_b32 v3, 0x3e0, v0
	s_delay_alu instid0(VALU_DEP_1) | instskip(SKIP_1) | instid1(VALU_DEP_1)
	v_sub_nc_u32_e64 v13, v4, v3 clamp
	v_add_nc_u32_e32 v3, 1, v1
	v_cmp_lt_u32_e32 vcc_lo, v3, v13
	s_delay_alu instid0(VALU_DEP_4) | instskip(NEXT) | instid1(VALU_DEP_1)
	v_dual_cndmask_b32 v8, v5, v8 :: v_dual_lshlrev_b32 v7, 1, v7
	v_add_lshl_u32 v6, v7, v1, 2
	v_cmp_gt_u32_e32 vcc_lo, 28, v1
	ds_bpermute_b32 v7, v6, v8
	v_cndmask_b32_e64 v5, 0, 1, vcc_lo
	s_waitcnt lgkmcnt(0)
	s_delay_alu instid0(VALU_DEP_1) | instskip(SKIP_1) | instid1(VALU_DEP_1)
	v_dual_add_f32 v10, v8, v7 :: v_dual_lshlrev_b32 v9, 2, v5
	v_add_nc_u32_e32 v5, 2, v1
	v_cmp_lt_u32_e32 vcc_lo, v5, v13
	s_delay_alu instid0(VALU_DEP_3) | instskip(NEXT) | instid1(VALU_DEP_4)
	v_cndmask_b32_e32 v10, v8, v10, vcc_lo
	v_add_lshl_u32 v7, v9, v1, 2
	v_cmp_gt_u32_e32 vcc_lo, 24, v1
	ds_bpermute_b32 v9, v7, v10
	v_cndmask_b32_e64 v8, 0, 1, vcc_lo
	s_delay_alu instid0(VALU_DEP_1) | instskip(SKIP_1) | instid1(VALU_DEP_1)
	v_lshlrev_b32_e32 v11, 3, v8
	v_add_nc_u32_e32 v8, 4, v1
	v_cmp_lt_u32_e32 vcc_lo, v8, v13
	s_waitcnt lgkmcnt(0)
	v_add_f32_e32 v12, v10, v9
	v_add_lshl_u32 v9, v11, v1, 2
	s_delay_alu instid0(VALU_DEP_2) | instskip(SKIP_3) | instid1(VALU_DEP_1)
	v_cndmask_b32_e32 v12, v10, v12, vcc_lo
	v_cmp_gt_u32_e32 vcc_lo, 16, v1
	ds_bpermute_b32 v11, v9, v12
	v_cndmask_b32_e64 v10, 0, 1, vcc_lo
	v_lshlrev_b32_e32 v14, 4, v10
	v_add_nc_u32_e32 v10, 8, v1
	s_delay_alu instid0(VALU_DEP_1) | instskip(SKIP_3) | instid1(VALU_DEP_2)
	v_cmp_lt_u32_e32 vcc_lo, v10, v13
	s_waitcnt lgkmcnt(0)
	v_add_f32_e32 v15, v12, v11
	v_add_lshl_u32 v11, v14, v1, 2
	v_cndmask_b32_e32 v14, v12, v15, vcc_lo
	v_add_nc_u32_e32 v12, 16, v1
	ds_bpermute_b32 v15, v11, v14
	v_cmp_lt_u32_e32 vcc_lo, v12, v13
	s_waitcnt lgkmcnt(0)
	v_add_f32_e32 v15, v14, v15
	s_delay_alu instid0(VALU_DEP_1)
	v_cndmask_b32_e32 v13, v14, v15, vcc_lo
	v_cmpx_eq_u32_e32 0, v1
	s_cbranch_execz .LBB48_8
; %bb.7:
	v_lshrrev_b32_e32 v14, 3, v0
	s_delay_alu instid0(VALU_DEP_1)
	v_and_b32_e32 v14, 0x7c, v14
	ds_store_b32 v14, v13
.LBB48_8:
	s_or_b32 exec_lo, exec_lo, s7
	s_delay_alu instid0(SALU_CYCLE_1)
	s_mov_b32 s7, exec_lo
	s_waitcnt lgkmcnt(0)
	s_waitcnt_vscnt null, 0x0
	s_barrier
	buffer_gl0_inv
	v_cmpx_gt_u32_e32 32, v0
	s_cbranch_execz .LBB48_10
; %bb.9:
	v_lshlrev_b32_e32 v1, 2, v1
	ds_load_b32 v1, v1
	s_waitcnt lgkmcnt(0)
	ds_bpermute_b32 v2, v2, v1
	s_waitcnt lgkmcnt(0)
	v_dual_add_f32 v2, v1, v2 :: v_dual_add_nc_u32 v13, 31, v4
	s_delay_alu instid0(VALU_DEP_1) | instskip(NEXT) | instid1(VALU_DEP_1)
	v_lshrrev_b32_e32 v13, 5, v13
	v_cmp_lt_u32_e32 vcc_lo, v3, v13
	s_delay_alu instid0(VALU_DEP_3) | instskip(SKIP_4) | instid1(VALU_DEP_1)
	v_cndmask_b32_e32 v1, v1, v2, vcc_lo
	v_cmp_lt_u32_e32 vcc_lo, v5, v13
	ds_bpermute_b32 v2, v6, v1
	s_waitcnt lgkmcnt(0)
	v_add_f32_e32 v2, v1, v2
	v_cndmask_b32_e32 v1, v1, v2, vcc_lo
	v_cmp_lt_u32_e32 vcc_lo, v8, v13
	ds_bpermute_b32 v2, v7, v1
	s_waitcnt lgkmcnt(0)
	v_add_f32_e32 v2, v1, v2
	s_delay_alu instid0(VALU_DEP_1) | instskip(SKIP_4) | instid1(VALU_DEP_1)
	v_cndmask_b32_e32 v1, v1, v2, vcc_lo
	v_cmp_lt_u32_e32 vcc_lo, v10, v13
	ds_bpermute_b32 v2, v9, v1
	s_waitcnt lgkmcnt(0)
	v_add_f32_e32 v2, v1, v2
	v_cndmask_b32_e32 v1, v1, v2, vcc_lo
	v_cmp_lt_u32_e32 vcc_lo, v12, v13
	ds_bpermute_b32 v2, v11, v1
	s_waitcnt lgkmcnt(0)
	v_add_f32_e32 v2, v1, v2
	s_delay_alu instid0(VALU_DEP_1)
	v_cndmask_b32_e32 v13, v1, v2, vcc_lo
.LBB48_10:
	s_or_b32 exec_lo, exec_lo, s7
	s_delay_alu instid0(SALU_CYCLE_1)
	s_mov_b32 s7, exec_lo
	v_cmpx_eq_u32_e32 0, v0
	s_cbranch_execz .LBB48_12
; %bb.11:
	v_cvt_f32_i32_e32 v1, s3
	s_load_b32 s0, s[0:1], 0x20
	s_delay_alu instid0(VALU_DEP_1) | instskip(SKIP_1) | instid1(VALU_DEP_2)
	v_div_scale_f32 v2, null, v1, v1, v13
	v_div_scale_f32 v6, vcc_lo, v13, v1, v13
	v_rcp_f32_e32 v3, v2
	s_waitcnt_depctr 0xfff
	v_fma_f32 v5, -v2, v3, 1.0
	s_delay_alu instid0(VALU_DEP_1) | instskip(NEXT) | instid1(VALU_DEP_1)
	v_fmac_f32_e32 v3, v5, v3
	v_mul_f32_e32 v5, v6, v3
	s_delay_alu instid0(VALU_DEP_1) | instskip(NEXT) | instid1(VALU_DEP_1)
	v_fma_f32 v7, -v2, v5, v6
	v_fmac_f32_e32 v5, v7, v3
	s_delay_alu instid0(VALU_DEP_1) | instskip(NEXT) | instid1(VALU_DEP_1)
	v_fma_f32 v2, -v2, v5, v6
	v_div_fmas_f32 v2, v2, v3, v5
	s_delay_alu instid0(VALU_DEP_1) | instskip(SKIP_1) | instid1(VALU_DEP_1)
	v_div_fixup_f32 v1, v2, v1, v13
	s_waitcnt lgkmcnt(0)
	v_add_f32_e32 v1, s0, v1
	s_delay_alu instid0(VALU_DEP_1) | instskip(SKIP_1) | instid1(VALU_DEP_2)
	v_mul_f32_e32 v2, 0x4b800000, v1
	v_cmp_gt_f32_e32 vcc_lo, 0x800000, v1
	v_cndmask_b32_e32 v1, v1, v2, vcc_lo
	s_delay_alu instid0(VALU_DEP_1) | instskip(SKIP_2) | instid1(VALU_DEP_1)
	v_rsq_f32_e32 v1, v1
	s_waitcnt_depctr 0xfff
	v_mul_f32_e32 v2, 0x45800000, v1
	v_dual_cndmask_b32 v1, v1, v2 :: v_dual_mov_b32 v2, 0
	ds_store_b32 v2, v1 offset:128
.LBB48_12:
	s_or_b32 exec_lo, exec_lo, s7
	s_waitcnt lgkmcnt(0)
	s_barrier
	buffer_gl0_inv
	s_and_saveexec_b32 s0, s2
	s_cbranch_execz .LBB48_15
; %bb.13:
	v_mov_b32_e32 v3, 0
	s_add_i32 s7, s14, s13
	s_delay_alu instid0(SALU_CYCLE_1) | instskip(NEXT) | instid1(SALU_CYCLE_1)
	s_lshl_b64 s[6:7], s[6:7], 2
	s_add_u32 s1, s4, s6
	ds_load_b32 v5, v3 offset:128
	s_addc_u32 s2, s5, s7
	s_mov_b32 s4, 0
	.p2align	6
.LBB48_14:                              ; =>This Inner Loop Header: Depth=1
	v_add_nc_u32_e32 v2, s12, v0
	v_ashrrev_i32_e32 v1, 31, v0
	s_delay_alu instid0(VALU_DEP_2) | instskip(NEXT) | instid1(VALU_DEP_2)
	v_lshlrev_b64 v[6:7], 2, v[2:3]
	v_lshlrev_b64 v[1:2], 2, v[0:1]
	v_add_nc_u32_e32 v0, v0, v4
	s_delay_alu instid0(VALU_DEP_3) | instskip(NEXT) | instid1(VALU_DEP_4)
	v_add_co_u32 v6, vcc_lo, s8, v6
	v_add_co_ci_u32_e32 v7, vcc_lo, s9, v7, vcc_lo
	s_delay_alu instid0(VALU_DEP_4)
	v_add_co_u32 v8, vcc_lo, s10, v1
	v_add_co_ci_u32_e32 v9, vcc_lo, s11, v2, vcc_lo
	v_cmp_le_i32_e32 vcc_lo, s3, v0
	global_load_b32 v6, v[6:7], off
	global_load_b32 v7, v[8:9], off
	v_add_co_u32 v1, s0, s1, v1
	s_delay_alu instid0(VALU_DEP_1) | instskip(SKIP_4) | instid1(VALU_DEP_1)
	v_add_co_ci_u32_e64 v2, s0, s2, v2, s0
	s_or_b32 s4, vcc_lo, s4
	s_waitcnt vmcnt(1) lgkmcnt(0)
	v_mul_f32_e32 v6, v6, v5
	s_waitcnt vmcnt(0)
	v_mul_f32_e32 v6, v6, v7
	global_store_b32 v[1:2], v6, off
	s_and_not1_b32 exec_lo, exec_lo, s4
	s_cbranch_execnz .LBB48_14
.LBB48_15:
	s_nop 0
	s_sendmsg sendmsg(MSG_DEALLOC_VGPRS)
	s_endpgm
	.section	.rodata,"a",@progbits
	.p2align	6, 0x0
	.amdhsa_kernel _ZN4vllm25fused_add_rms_norm_kernelIfLi0EEENSt9enable_ifIXooeqT0_Li0Entsr12_typeConvertIT_EE6existsEvE4typeEPS2_lS5_PKS2_fii
		.amdhsa_group_segment_fixed_size 132
		.amdhsa_private_segment_fixed_size 0
		.amdhsa_kernarg_size 304
		.amdhsa_user_sgpr_count 15
		.amdhsa_user_sgpr_dispatch_ptr 0
		.amdhsa_user_sgpr_queue_ptr 0
		.amdhsa_user_sgpr_kernarg_segment_ptr 1
		.amdhsa_user_sgpr_dispatch_id 0
		.amdhsa_user_sgpr_private_segment_size 0
		.amdhsa_wavefront_size32 1
		.amdhsa_uses_dynamic_stack 0
		.amdhsa_enable_private_segment 0
		.amdhsa_system_sgpr_workgroup_id_x 1
		.amdhsa_system_sgpr_workgroup_id_y 0
		.amdhsa_system_sgpr_workgroup_id_z 0
		.amdhsa_system_sgpr_workgroup_info 0
		.amdhsa_system_vgpr_workitem_id 0
		.amdhsa_next_free_vgpr 16
		.amdhsa_next_free_sgpr 21
		.amdhsa_reserve_vcc 1
		.amdhsa_float_round_mode_32 0
		.amdhsa_float_round_mode_16_64 0
		.amdhsa_float_denorm_mode_32 3
		.amdhsa_float_denorm_mode_16_64 3
		.amdhsa_dx10_clamp 1
		.amdhsa_ieee_mode 1
		.amdhsa_fp16_overflow 0
		.amdhsa_workgroup_processor_mode 1
		.amdhsa_memory_ordered 1
		.amdhsa_forward_progress 0
		.amdhsa_shared_vgpr_count 0
		.amdhsa_exception_fp_ieee_invalid_op 0
		.amdhsa_exception_fp_denorm_src 0
		.amdhsa_exception_fp_ieee_div_zero 0
		.amdhsa_exception_fp_ieee_overflow 0
		.amdhsa_exception_fp_ieee_underflow 0
		.amdhsa_exception_fp_ieee_inexact 0
		.amdhsa_exception_int_div_zero 0
	.end_amdhsa_kernel
	.section	.text._ZN4vllm25fused_add_rms_norm_kernelIfLi0EEENSt9enable_ifIXooeqT0_Li0Entsr12_typeConvertIT_EE6existsEvE4typeEPS2_lS5_PKS2_fii,"axG",@progbits,_ZN4vllm25fused_add_rms_norm_kernelIfLi0EEENSt9enable_ifIXooeqT0_Li0Entsr12_typeConvertIT_EE6existsEvE4typeEPS2_lS5_PKS2_fii,comdat
.Lfunc_end48:
	.size	_ZN4vllm25fused_add_rms_norm_kernelIfLi0EEENSt9enable_ifIXooeqT0_Li0Entsr12_typeConvertIT_EE6existsEvE4typeEPS2_lS5_PKS2_fii, .Lfunc_end48-_ZN4vllm25fused_add_rms_norm_kernelIfLi0EEENSt9enable_ifIXooeqT0_Li0Entsr12_typeConvertIT_EE6existsEvE4typeEPS2_lS5_PKS2_fii
                                        ; -- End function
	.section	.AMDGPU.csdata,"",@progbits
; Kernel info:
; codeLenInByte = 1268
; NumSgprs: 23
; NumVgprs: 16
; ScratchSize: 0
; MemoryBound: 0
; FloatMode: 240
; IeeeMode: 1
; LDSByteSize: 132 bytes/workgroup (compile time only)
; SGPRBlocks: 2
; VGPRBlocks: 1
; NumSGPRsForWavesPerEU: 23
; NumVGPRsForWavesPerEU: 16
; Occupancy: 16
; WaveLimiterHint : 0
; COMPUTE_PGM_RSRC2:SCRATCH_EN: 0
; COMPUTE_PGM_RSRC2:USER_SGPR: 15
; COMPUTE_PGM_RSRC2:TRAP_HANDLER: 0
; COMPUTE_PGM_RSRC2:TGID_X_EN: 1
; COMPUTE_PGM_RSRC2:TGID_Y_EN: 0
; COMPUTE_PGM_RSRC2:TGID_Z_EN: 0
; COMPUTE_PGM_RSRC2:TIDIG_COMP_CNT: 0
	.section	.text._ZN4vllm25fused_add_rms_norm_kernelIN3c104HalfELi0EEENSt9enable_ifIXooeqT0_Li0Entsr12_typeConvertIT_EE6existsEvE4typeEPS4_lS7_PKS4_fii,"axG",@progbits,_ZN4vllm25fused_add_rms_norm_kernelIN3c104HalfELi0EEENSt9enable_ifIXooeqT0_Li0Entsr12_typeConvertIT_EE6existsEvE4typeEPS4_lS7_PKS4_fii,comdat
	.protected	_ZN4vllm25fused_add_rms_norm_kernelIN3c104HalfELi0EEENSt9enable_ifIXooeqT0_Li0Entsr12_typeConvertIT_EE6existsEvE4typeEPS4_lS7_PKS4_fii ; -- Begin function _ZN4vllm25fused_add_rms_norm_kernelIN3c104HalfELi0EEENSt9enable_ifIXooeqT0_Li0Entsr12_typeConvertIT_EE6existsEvE4typeEPS4_lS7_PKS4_fii
	.globl	_ZN4vllm25fused_add_rms_norm_kernelIN3c104HalfELi0EEENSt9enable_ifIXooeqT0_Li0Entsr12_typeConvertIT_EE6existsEvE4typeEPS4_lS7_PKS4_fii
	.p2align	8
	.type	_ZN4vllm25fused_add_rms_norm_kernelIN3c104HalfELi0EEENSt9enable_ifIXooeqT0_Li0Entsr12_typeConvertIT_EE6existsEvE4typeEPS4_lS7_PKS4_fii,@function
_ZN4vllm25fused_add_rms_norm_kernelIN3c104HalfELi0EEENSt9enable_ifIXooeqT0_Li0Entsr12_typeConvertIT_EE6existsEvE4typeEPS4_lS7_PKS4_fii: ; @_ZN4vllm25fused_add_rms_norm_kernelIN3c104HalfELi0EEENSt9enable_ifIXooeqT0_Li0Entsr12_typeConvertIT_EE6existsEvE4typeEPS4_lS7_PKS4_fii
; %bb.0:
	s_clause 0x2
	s_load_b32 s3, s[0:1], 0x28
	s_load_b128 s[4:7], s[0:1], 0x0
	s_load_b64 s[8:9], s[0:1], 0x10
	s_mov_b32 s10, exec_lo
                                        ; implicit-def: $sgpr13
                                        ; implicit-def: $sgpr12
	s_waitcnt lgkmcnt(0)
	v_cmp_gt_i32_e64 s2, s3, v0
	v_cmpx_le_i32_e64 s3, v0
	s_xor_b32 s10, exec_lo, s10
	s_cbranch_execz .LBB49_2
; %bb.1:
	s_load_b32 s11, s[0:1], 0x3c
	s_mov_b32 s13, 0
	s_waitcnt lgkmcnt(0)
	s_and_b32 s12, s11, 0xffff
.LBB49_2:
	s_or_saveexec_b32 s16, s10
	s_load_b64 s[10:11], s[0:1], 0x18
	v_dual_mov_b32 v5, s13 :: v_dual_mov_b32 v4, s12
	s_mul_i32 s12, s15, s3
	s_mul_i32 s13, s15, s7
	s_mul_hi_u32 s14, s15, s6
	s_mul_i32 s6, s15, s6
	s_xor_b32 exec_lo, exec_lo, s16
	s_cbranch_execz .LBB49_6
; %bb.3:
	s_load_b32 s20, s[0:1], 0x3c
	s_add_i32 s7, s14, s13
	v_dual_mov_b32 v2, 0 :: v_dual_mov_b32 v5, 0
	s_lshl_b64 s[18:19], s[6:7], 1
	v_mov_b32_e32 v3, v0
	s_add_u32 s15, s4, s18
	s_addc_u32 s17, s5, s19
	s_mov_b32 s18, 0
	s_waitcnt lgkmcnt(0)
	s_and_b32 s7, s20, 0xffff
	.p2align	6
.LBB49_4:                               ; =>This Inner Loop Header: Depth=1
	v_ashrrev_i32_e32 v4, 31, v3
	v_add_nc_u32_e32 v1, s12, v3
	s_delay_alu instid0(VALU_DEP_2) | instskip(NEXT) | instid1(VALU_DEP_2)
	v_lshlrev_b64 v[6:7], 1, v[3:4]
	v_lshlrev_b64 v[8:9], 1, v[1:2]
	v_add_nc_u32_e32 v3, s7, v3
	s_delay_alu instid0(VALU_DEP_3) | instskip(NEXT) | instid1(VALU_DEP_4)
	v_add_co_u32 v6, vcc_lo, s15, v6
	v_add_co_ci_u32_e32 v7, vcc_lo, s17, v7, vcc_lo
	s_delay_alu instid0(VALU_DEP_4)
	v_add_co_u32 v8, vcc_lo, s8, v8
	v_add_co_ci_u32_e32 v9, vcc_lo, s9, v9, vcc_lo
	v_cmp_le_i32_e32 vcc_lo, s3, v3
	global_load_u16 v1, v[6:7], off
	global_load_u16 v4, v[8:9], off
	s_or_b32 s18, vcc_lo, s18
	s_waitcnt vmcnt(0)
	v_add_f16_e32 v1, v1, v4
	s_delay_alu instid0(VALU_DEP_1)
	v_fma_mix_f32 v5, v1, v1, v5 op_sel_hi:[1,1,0]
	global_store_b16 v[8:9], v1, off
	s_and_not1_b32 exec_lo, exec_lo, s18
	s_cbranch_execnz .LBB49_4
; %bb.5:
	s_or_b32 exec_lo, exec_lo, s18
	v_mov_b32_e32 v4, s7
.LBB49_6:
	s_or_b32 exec_lo, exec_lo, s16
	v_mbcnt_lo_u32_b32 v1, -1, 0
	s_mov_b32 s7, exec_lo
	s_delay_alu instid0(VALU_DEP_1) | instskip(SKIP_2) | instid1(VALU_DEP_2)
	v_cmp_ne_u32_e32 vcc_lo, 31, v1
	v_add_co_ci_u32_e32 v2, vcc_lo, 0, v1, vcc_lo
	v_cmp_gt_u32_e32 vcc_lo, 30, v1
	v_lshlrev_b32_e32 v2, 2, v2
	v_cndmask_b32_e64 v7, 0, 1, vcc_lo
	ds_bpermute_b32 v6, v2, v5
	s_waitcnt lgkmcnt(0)
	v_dual_add_f32 v8, v5, v6 :: v_dual_and_b32 v3, 0x3e0, v0
	s_delay_alu instid0(VALU_DEP_1) | instskip(SKIP_1) | instid1(VALU_DEP_1)
	v_sub_nc_u32_e64 v13, v4, v3 clamp
	v_add_nc_u32_e32 v3, 1, v1
	v_cmp_lt_u32_e32 vcc_lo, v3, v13
	s_delay_alu instid0(VALU_DEP_4) | instskip(NEXT) | instid1(VALU_DEP_1)
	v_dual_cndmask_b32 v8, v5, v8 :: v_dual_lshlrev_b32 v7, 1, v7
	v_add_lshl_u32 v6, v7, v1, 2
	v_cmp_gt_u32_e32 vcc_lo, 28, v1
	ds_bpermute_b32 v7, v6, v8
	v_cndmask_b32_e64 v5, 0, 1, vcc_lo
	s_waitcnt lgkmcnt(0)
	s_delay_alu instid0(VALU_DEP_1) | instskip(SKIP_1) | instid1(VALU_DEP_1)
	v_dual_add_f32 v10, v8, v7 :: v_dual_lshlrev_b32 v9, 2, v5
	v_add_nc_u32_e32 v5, 2, v1
	v_cmp_lt_u32_e32 vcc_lo, v5, v13
	s_delay_alu instid0(VALU_DEP_3) | instskip(NEXT) | instid1(VALU_DEP_4)
	v_cndmask_b32_e32 v10, v8, v10, vcc_lo
	v_add_lshl_u32 v7, v9, v1, 2
	v_cmp_gt_u32_e32 vcc_lo, 24, v1
	ds_bpermute_b32 v9, v7, v10
	v_cndmask_b32_e64 v8, 0, 1, vcc_lo
	s_delay_alu instid0(VALU_DEP_1) | instskip(SKIP_1) | instid1(VALU_DEP_1)
	v_lshlrev_b32_e32 v11, 3, v8
	v_add_nc_u32_e32 v8, 4, v1
	v_cmp_lt_u32_e32 vcc_lo, v8, v13
	s_waitcnt lgkmcnt(0)
	v_add_f32_e32 v12, v10, v9
	v_add_lshl_u32 v9, v11, v1, 2
	s_delay_alu instid0(VALU_DEP_2) | instskip(SKIP_3) | instid1(VALU_DEP_1)
	v_cndmask_b32_e32 v12, v10, v12, vcc_lo
	v_cmp_gt_u32_e32 vcc_lo, 16, v1
	ds_bpermute_b32 v11, v9, v12
	v_cndmask_b32_e64 v10, 0, 1, vcc_lo
	v_lshlrev_b32_e32 v14, 4, v10
	v_add_nc_u32_e32 v10, 8, v1
	s_delay_alu instid0(VALU_DEP_1) | instskip(SKIP_3) | instid1(VALU_DEP_2)
	v_cmp_lt_u32_e32 vcc_lo, v10, v13
	s_waitcnt lgkmcnt(0)
	v_add_f32_e32 v15, v12, v11
	v_add_lshl_u32 v11, v14, v1, 2
	v_cndmask_b32_e32 v14, v12, v15, vcc_lo
	v_add_nc_u32_e32 v12, 16, v1
	ds_bpermute_b32 v15, v11, v14
	v_cmp_lt_u32_e32 vcc_lo, v12, v13
	s_waitcnt lgkmcnt(0)
	v_add_f32_e32 v15, v14, v15
	s_delay_alu instid0(VALU_DEP_1)
	v_cndmask_b32_e32 v13, v14, v15, vcc_lo
	v_cmpx_eq_u32_e32 0, v1
	s_cbranch_execz .LBB49_8
; %bb.7:
	v_lshrrev_b32_e32 v14, 3, v0
	s_delay_alu instid0(VALU_DEP_1)
	v_and_b32_e32 v14, 0x7c, v14
	ds_store_b32 v14, v13
.LBB49_8:
	s_or_b32 exec_lo, exec_lo, s7
	s_delay_alu instid0(SALU_CYCLE_1)
	s_mov_b32 s7, exec_lo
	s_waitcnt lgkmcnt(0)
	s_waitcnt_vscnt null, 0x0
	s_barrier
	buffer_gl0_inv
	v_cmpx_gt_u32_e32 32, v0
	s_cbranch_execz .LBB49_10
; %bb.9:
	v_lshlrev_b32_e32 v1, 2, v1
	ds_load_b32 v1, v1
	s_waitcnt lgkmcnt(0)
	ds_bpermute_b32 v2, v2, v1
	s_waitcnt lgkmcnt(0)
	v_dual_add_f32 v2, v1, v2 :: v_dual_add_nc_u32 v13, 31, v4
	s_delay_alu instid0(VALU_DEP_1) | instskip(NEXT) | instid1(VALU_DEP_1)
	v_lshrrev_b32_e32 v13, 5, v13
	v_cmp_lt_u32_e32 vcc_lo, v3, v13
	s_delay_alu instid0(VALU_DEP_3) | instskip(SKIP_4) | instid1(VALU_DEP_1)
	v_cndmask_b32_e32 v1, v1, v2, vcc_lo
	v_cmp_lt_u32_e32 vcc_lo, v5, v13
	ds_bpermute_b32 v2, v6, v1
	s_waitcnt lgkmcnt(0)
	v_add_f32_e32 v2, v1, v2
	v_cndmask_b32_e32 v1, v1, v2, vcc_lo
	v_cmp_lt_u32_e32 vcc_lo, v8, v13
	ds_bpermute_b32 v2, v7, v1
	s_waitcnt lgkmcnt(0)
	v_add_f32_e32 v2, v1, v2
	s_delay_alu instid0(VALU_DEP_1) | instskip(SKIP_4) | instid1(VALU_DEP_1)
	v_cndmask_b32_e32 v1, v1, v2, vcc_lo
	v_cmp_lt_u32_e32 vcc_lo, v10, v13
	ds_bpermute_b32 v2, v9, v1
	s_waitcnt lgkmcnt(0)
	v_add_f32_e32 v2, v1, v2
	v_cndmask_b32_e32 v1, v1, v2, vcc_lo
	v_cmp_lt_u32_e32 vcc_lo, v12, v13
	ds_bpermute_b32 v2, v11, v1
	s_waitcnt lgkmcnt(0)
	v_add_f32_e32 v2, v1, v2
	s_delay_alu instid0(VALU_DEP_1)
	v_cndmask_b32_e32 v13, v1, v2, vcc_lo
.LBB49_10:
	s_or_b32 exec_lo, exec_lo, s7
	s_delay_alu instid0(SALU_CYCLE_1)
	s_mov_b32 s7, exec_lo
	v_cmpx_eq_u32_e32 0, v0
	s_cbranch_execz .LBB49_12
; %bb.11:
	v_cvt_f32_i32_e32 v1, s3
	s_load_b32 s0, s[0:1], 0x20
	s_delay_alu instid0(VALU_DEP_1) | instskip(SKIP_1) | instid1(VALU_DEP_2)
	v_div_scale_f32 v2, null, v1, v1, v13
	v_div_scale_f32 v6, vcc_lo, v13, v1, v13
	v_rcp_f32_e32 v3, v2
	s_waitcnt_depctr 0xfff
	v_fma_f32 v5, -v2, v3, 1.0
	s_delay_alu instid0(VALU_DEP_1) | instskip(NEXT) | instid1(VALU_DEP_1)
	v_fmac_f32_e32 v3, v5, v3
	v_mul_f32_e32 v5, v6, v3
	s_delay_alu instid0(VALU_DEP_1) | instskip(NEXT) | instid1(VALU_DEP_1)
	v_fma_f32 v7, -v2, v5, v6
	v_fmac_f32_e32 v5, v7, v3
	s_delay_alu instid0(VALU_DEP_1) | instskip(NEXT) | instid1(VALU_DEP_1)
	v_fma_f32 v2, -v2, v5, v6
	v_div_fmas_f32 v2, v2, v3, v5
	s_delay_alu instid0(VALU_DEP_1) | instskip(SKIP_1) | instid1(VALU_DEP_1)
	v_div_fixup_f32 v1, v2, v1, v13
	s_waitcnt lgkmcnt(0)
	v_add_f32_e32 v1, s0, v1
	s_delay_alu instid0(VALU_DEP_1) | instskip(SKIP_1) | instid1(VALU_DEP_2)
	v_mul_f32_e32 v2, 0x4b800000, v1
	v_cmp_gt_f32_e32 vcc_lo, 0x800000, v1
	v_cndmask_b32_e32 v1, v1, v2, vcc_lo
	s_delay_alu instid0(VALU_DEP_1) | instskip(SKIP_2) | instid1(VALU_DEP_1)
	v_rsq_f32_e32 v1, v1
	s_waitcnt_depctr 0xfff
	v_mul_f32_e32 v2, 0x45800000, v1
	v_dual_cndmask_b32 v1, v1, v2 :: v_dual_mov_b32 v2, 0
	ds_store_b32 v2, v1 offset:128
.LBB49_12:
	s_or_b32 exec_lo, exec_lo, s7
	s_waitcnt lgkmcnt(0)
	s_barrier
	buffer_gl0_inv
	s_and_saveexec_b32 s0, s2
	s_cbranch_execz .LBB49_15
; %bb.13:
	v_mov_b32_e32 v3, 0
	s_add_i32 s7, s14, s13
	s_delay_alu instid0(SALU_CYCLE_1) | instskip(NEXT) | instid1(SALU_CYCLE_1)
	s_lshl_b64 s[6:7], s[6:7], 1
	s_add_u32 s1, s4, s6
	ds_load_b32 v5, v3 offset:128
	s_addc_u32 s2, s5, s7
	s_mov_b32 s4, 0
	.p2align	6
.LBB49_14:                              ; =>This Inner Loop Header: Depth=1
	v_add_nc_u32_e32 v2, s12, v0
	v_ashrrev_i32_e32 v1, 31, v0
	s_delay_alu instid0(VALU_DEP_2) | instskip(NEXT) | instid1(VALU_DEP_2)
	v_lshlrev_b64 v[6:7], 1, v[2:3]
	v_lshlrev_b64 v[1:2], 1, v[0:1]
	v_add_nc_u32_e32 v0, v0, v4
	s_delay_alu instid0(VALU_DEP_3) | instskip(NEXT) | instid1(VALU_DEP_4)
	v_add_co_u32 v6, vcc_lo, s8, v6
	v_add_co_ci_u32_e32 v7, vcc_lo, s9, v7, vcc_lo
	s_delay_alu instid0(VALU_DEP_4)
	v_add_co_u32 v8, vcc_lo, s10, v1
	v_add_co_ci_u32_e32 v9, vcc_lo, s11, v2, vcc_lo
	v_cmp_le_i32_e32 vcc_lo, s3, v0
	global_load_u16 v6, v[6:7], off
	global_load_u16 v7, v[8:9], off
	v_add_co_u32 v1, s0, s1, v1
	s_delay_alu instid0(VALU_DEP_1) | instskip(SKIP_4) | instid1(VALU_DEP_1)
	v_add_co_ci_u32_e64 v2, s0, s2, v2, s0
	s_or_b32 s4, vcc_lo, s4
	s_waitcnt vmcnt(1) lgkmcnt(0)
	v_fma_mixlo_f16 v6, v5, v6, 0 op_sel_hi:[0,1,0]
	s_waitcnt vmcnt(0)
	v_mul_f16_e32 v6, v7, v6
	global_store_b16 v[1:2], v6, off
	s_and_not1_b32 exec_lo, exec_lo, s4
	s_cbranch_execnz .LBB49_14
.LBB49_15:
	s_nop 0
	s_sendmsg sendmsg(MSG_DEALLOC_VGPRS)
	s_endpgm
	.section	.rodata,"a",@progbits
	.p2align	6, 0x0
	.amdhsa_kernel _ZN4vllm25fused_add_rms_norm_kernelIN3c104HalfELi0EEENSt9enable_ifIXooeqT0_Li0Entsr12_typeConvertIT_EE6existsEvE4typeEPS4_lS7_PKS4_fii
		.amdhsa_group_segment_fixed_size 132
		.amdhsa_private_segment_fixed_size 0
		.amdhsa_kernarg_size 304
		.amdhsa_user_sgpr_count 15
		.amdhsa_user_sgpr_dispatch_ptr 0
		.amdhsa_user_sgpr_queue_ptr 0
		.amdhsa_user_sgpr_kernarg_segment_ptr 1
		.amdhsa_user_sgpr_dispatch_id 0
		.amdhsa_user_sgpr_private_segment_size 0
		.amdhsa_wavefront_size32 1
		.amdhsa_uses_dynamic_stack 0
		.amdhsa_enable_private_segment 0
		.amdhsa_system_sgpr_workgroup_id_x 1
		.amdhsa_system_sgpr_workgroup_id_y 0
		.amdhsa_system_sgpr_workgroup_id_z 0
		.amdhsa_system_sgpr_workgroup_info 0
		.amdhsa_system_vgpr_workitem_id 0
		.amdhsa_next_free_vgpr 16
		.amdhsa_next_free_sgpr 21
		.amdhsa_reserve_vcc 1
		.amdhsa_float_round_mode_32 0
		.amdhsa_float_round_mode_16_64 0
		.amdhsa_float_denorm_mode_32 3
		.amdhsa_float_denorm_mode_16_64 3
		.amdhsa_dx10_clamp 1
		.amdhsa_ieee_mode 1
		.amdhsa_fp16_overflow 0
		.amdhsa_workgroup_processor_mode 1
		.amdhsa_memory_ordered 1
		.amdhsa_forward_progress 0
		.amdhsa_shared_vgpr_count 0
		.amdhsa_exception_fp_ieee_invalid_op 0
		.amdhsa_exception_fp_denorm_src 0
		.amdhsa_exception_fp_ieee_div_zero 0
		.amdhsa_exception_fp_ieee_overflow 0
		.amdhsa_exception_fp_ieee_underflow 0
		.amdhsa_exception_fp_ieee_inexact 0
		.amdhsa_exception_int_div_zero 0
	.end_amdhsa_kernel
	.section	.text._ZN4vllm25fused_add_rms_norm_kernelIN3c104HalfELi0EEENSt9enable_ifIXooeqT0_Li0Entsr12_typeConvertIT_EE6existsEvE4typeEPS4_lS7_PKS4_fii,"axG",@progbits,_ZN4vllm25fused_add_rms_norm_kernelIN3c104HalfELi0EEENSt9enable_ifIXooeqT0_Li0Entsr12_typeConvertIT_EE6existsEvE4typeEPS4_lS7_PKS4_fii,comdat
.Lfunc_end49:
	.size	_ZN4vllm25fused_add_rms_norm_kernelIN3c104HalfELi0EEENSt9enable_ifIXooeqT0_Li0Entsr12_typeConvertIT_EE6existsEvE4typeEPS4_lS7_PKS4_fii, .Lfunc_end49-_ZN4vllm25fused_add_rms_norm_kernelIN3c104HalfELi0EEENSt9enable_ifIXooeqT0_Li0Entsr12_typeConvertIT_EE6existsEvE4typeEPS4_lS7_PKS4_fii
                                        ; -- End function
	.section	.AMDGPU.csdata,"",@progbits
; Kernel info:
; codeLenInByte = 1276
; NumSgprs: 23
; NumVgprs: 16
; ScratchSize: 0
; MemoryBound: 0
; FloatMode: 240
; IeeeMode: 1
; LDSByteSize: 132 bytes/workgroup (compile time only)
; SGPRBlocks: 2
; VGPRBlocks: 1
; NumSGPRsForWavesPerEU: 23
; NumVGPRsForWavesPerEU: 16
; Occupancy: 16
; WaveLimiterHint : 0
; COMPUTE_PGM_RSRC2:SCRATCH_EN: 0
; COMPUTE_PGM_RSRC2:USER_SGPR: 15
; COMPUTE_PGM_RSRC2:TRAP_HANDLER: 0
; COMPUTE_PGM_RSRC2:TGID_X_EN: 1
; COMPUTE_PGM_RSRC2:TGID_Y_EN: 0
; COMPUTE_PGM_RSRC2:TGID_Z_EN: 0
; COMPUTE_PGM_RSRC2:TIDIG_COMP_CNT: 0
	.section	.text._ZN4vllm25fused_add_rms_norm_kernelIN3c108BFloat16ELi0EEENSt9enable_ifIXooeqT0_Li0Entsr12_typeConvertIT_EE6existsEvE4typeEPS4_lS7_PKS4_fii,"axG",@progbits,_ZN4vllm25fused_add_rms_norm_kernelIN3c108BFloat16ELi0EEENSt9enable_ifIXooeqT0_Li0Entsr12_typeConvertIT_EE6existsEvE4typeEPS4_lS7_PKS4_fii,comdat
	.protected	_ZN4vllm25fused_add_rms_norm_kernelIN3c108BFloat16ELi0EEENSt9enable_ifIXooeqT0_Li0Entsr12_typeConvertIT_EE6existsEvE4typeEPS4_lS7_PKS4_fii ; -- Begin function _ZN4vllm25fused_add_rms_norm_kernelIN3c108BFloat16ELi0EEENSt9enable_ifIXooeqT0_Li0Entsr12_typeConvertIT_EE6existsEvE4typeEPS4_lS7_PKS4_fii
	.globl	_ZN4vllm25fused_add_rms_norm_kernelIN3c108BFloat16ELi0EEENSt9enable_ifIXooeqT0_Li0Entsr12_typeConvertIT_EE6existsEvE4typeEPS4_lS7_PKS4_fii
	.p2align	8
	.type	_ZN4vllm25fused_add_rms_norm_kernelIN3c108BFloat16ELi0EEENSt9enable_ifIXooeqT0_Li0Entsr12_typeConvertIT_EE6existsEvE4typeEPS4_lS7_PKS4_fii,@function
_ZN4vllm25fused_add_rms_norm_kernelIN3c108BFloat16ELi0EEENSt9enable_ifIXooeqT0_Li0Entsr12_typeConvertIT_EE6existsEvE4typeEPS4_lS7_PKS4_fii: ; @_ZN4vllm25fused_add_rms_norm_kernelIN3c108BFloat16ELi0EEENSt9enable_ifIXooeqT0_Li0Entsr12_typeConvertIT_EE6existsEvE4typeEPS4_lS7_PKS4_fii
; %bb.0:
	s_clause 0x2
	s_load_b32 s3, s[0:1], 0x28
	s_load_b128 s[4:7], s[0:1], 0x0
	s_load_b64 s[8:9], s[0:1], 0x10
	s_mov_b32 s10, exec_lo
                                        ; implicit-def: $sgpr13
                                        ; implicit-def: $sgpr12
	s_waitcnt lgkmcnt(0)
	v_cmp_gt_i32_e64 s2, s3, v0
	v_cmpx_le_i32_e64 s3, v0
	s_xor_b32 s10, exec_lo, s10
	s_cbranch_execz .LBB50_2
; %bb.1:
	s_load_b32 s11, s[0:1], 0x3c
	s_mov_b32 s13, 0
	s_waitcnt lgkmcnt(0)
	s_and_b32 s12, s11, 0xffff
.LBB50_2:
	s_or_saveexec_b32 s16, s10
	s_load_b64 s[10:11], s[0:1], 0x18
	v_mov_b32_e32 v5, s13
	v_mov_b32_e32 v3, s12
	s_mul_i32 s12, s15, s3
	s_mul_i32 s13, s15, s7
	s_mul_hi_u32 s14, s15, s6
	s_mul_i32 s6, s15, s6
	s_xor_b32 exec_lo, exec_lo, s16
	s_cbranch_execz .LBB50_6
; %bb.3:
	s_load_b32 s20, s[0:1], 0x3c
	s_add_i32 s7, s14, s13
	v_dual_mov_b32 v2, 0 :: v_dual_mov_b32 v5, 0
	s_lshl_b64 s[18:19], s[6:7], 1
	v_mov_b32_e32 v3, v0
	s_add_u32 s15, s4, s18
	s_addc_u32 s17, s5, s19
	s_mov_b32 s18, 0
	s_waitcnt lgkmcnt(0)
	s_and_b32 s7, s20, 0xffff
	s_set_inst_prefetch_distance 0x1
	.p2align	6
.LBB50_4:                               ; =>This Inner Loop Header: Depth=1
	v_add_nc_u32_e32 v1, s12, v3
	v_ashrrev_i32_e32 v4, 31, v3
	s_delay_alu instid0(VALU_DEP_2) | instskip(NEXT) | instid1(VALU_DEP_2)
	v_lshlrev_b64 v[6:7], 1, v[1:2]
	v_lshlrev_b64 v[8:9], 1, v[3:4]
	v_add_nc_u32_e32 v3, s7, v3
	s_delay_alu instid0(VALU_DEP_3) | instskip(NEXT) | instid1(VALU_DEP_4)
	v_add_co_u32 v6, vcc_lo, s8, v6
	v_add_co_ci_u32_e32 v7, vcc_lo, s9, v7, vcc_lo
	s_delay_alu instid0(VALU_DEP_4)
	v_add_co_u32 v8, vcc_lo, s15, v8
	v_add_co_ci_u32_e32 v9, vcc_lo, s17, v9, vcc_lo
	global_load_u16 v1, v[6:7], off
	global_load_u16 v4, v[8:9], off
	s_waitcnt vmcnt(1)
	v_lshlrev_b32_e32 v1, 16, v1
	s_waitcnt vmcnt(0)
	v_lshlrev_b32_e32 v4, 16, v4
	s_delay_alu instid0(VALU_DEP_1) | instskip(NEXT) | instid1(VALU_DEP_1)
	v_add_f32_e32 v1, v4, v1
	v_bfe_u32 v4, v1, 16, 1
	v_cmp_o_f32_e32 vcc_lo, v1, v1
	s_delay_alu instid0(VALU_DEP_2) | instskip(NEXT) | instid1(VALU_DEP_1)
	v_add3_u32 v4, v1, v4, 0x7fff
	v_lshrrev_b32_e32 v4, 16, v4
	s_delay_alu instid0(VALU_DEP_1) | instskip(SKIP_1) | instid1(VALU_DEP_2)
	v_cndmask_b32_e32 v1, 0x7fc0, v4, vcc_lo
	v_cmp_le_i32_e32 vcc_lo, s3, v3
	v_lshlrev_b32_e32 v4, 16, v1
	s_or_b32 s18, vcc_lo, s18
	global_store_b16 v[6:7], v1, off
	v_fmac_f32_e32 v5, v4, v4
	s_and_not1_b32 exec_lo, exec_lo, s18
	s_cbranch_execnz .LBB50_4
; %bb.5:
	s_set_inst_prefetch_distance 0x2
	s_or_b32 exec_lo, exec_lo, s18
	v_mov_b32_e32 v3, s7
.LBB50_6:
	s_or_b32 exec_lo, exec_lo, s16
	v_mbcnt_lo_u32_b32 v1, -1, 0
	v_and_b32_e32 v4, 0x3e0, v0
	s_mov_b32 s7, exec_lo
	s_delay_alu instid0(VALU_DEP_2) | instskip(NEXT) | instid1(VALU_DEP_2)
	v_cmp_ne_u32_e32 vcc_lo, 31, v1
	v_sub_nc_u32_e64 v13, v3, v4 clamp
	v_add_nc_u32_e32 v4, 1, v1
	v_add_co_ci_u32_e32 v2, vcc_lo, 0, v1, vcc_lo
	v_cmp_gt_u32_e32 vcc_lo, 30, v1
	s_delay_alu instid0(VALU_DEP_2)
	v_lshlrev_b32_e32 v2, 2, v2
	v_cndmask_b32_e64 v7, 0, 1, vcc_lo
	v_cmp_lt_u32_e32 vcc_lo, v4, v13
	ds_bpermute_b32 v6, v2, v5
	s_waitcnt lgkmcnt(0)
	v_dual_add_f32 v8, v5, v6 :: v_dual_lshlrev_b32 v7, 1, v7
	s_delay_alu instid0(VALU_DEP_1) | instskip(NEXT) | instid1(VALU_DEP_2)
	v_add_lshl_u32 v6, v7, v1, 2
	v_cndmask_b32_e32 v8, v5, v8, vcc_lo
	v_cmp_gt_u32_e32 vcc_lo, 28, v1
	v_cndmask_b32_e64 v5, 0, 1, vcc_lo
	s_delay_alu instid0(VALU_DEP_1) | instskip(SKIP_3) | instid1(VALU_DEP_1)
	v_lshlrev_b32_e32 v9, 2, v5
	ds_bpermute_b32 v7, v6, v8
	s_waitcnt lgkmcnt(0)
	v_dual_add_f32 v10, v8, v7 :: v_dual_add_nc_u32 v5, 2, v1
	v_cmp_lt_u32_e32 vcc_lo, v5, v13
	v_add_lshl_u32 v7, v9, v1, 2
	s_delay_alu instid0(VALU_DEP_3) | instskip(SKIP_2) | instid1(VALU_DEP_1)
	v_cndmask_b32_e32 v10, v8, v10, vcc_lo
	v_cmp_gt_u32_e32 vcc_lo, 24, v1
	v_cndmask_b32_e64 v8, 0, 1, vcc_lo
	v_lshlrev_b32_e32 v11, 3, v8
	ds_bpermute_b32 v9, v7, v10
	v_add_nc_u32_e32 v8, 4, v1
	s_delay_alu instid0(VALU_DEP_1) | instskip(SKIP_3) | instid1(VALU_DEP_2)
	v_cmp_lt_u32_e32 vcc_lo, v8, v13
	s_waitcnt lgkmcnt(0)
	v_add_f32_e32 v12, v10, v9
	v_add_lshl_u32 v9, v11, v1, 2
	v_cndmask_b32_e32 v12, v10, v12, vcc_lo
	v_cmp_gt_u32_e32 vcc_lo, 16, v1
	ds_bpermute_b32 v11, v9, v12
	v_cndmask_b32_e64 v10, 0, 1, vcc_lo
	s_delay_alu instid0(VALU_DEP_1) | instskip(SKIP_1) | instid1(VALU_DEP_1)
	v_lshlrev_b32_e32 v14, 4, v10
	v_add_nc_u32_e32 v10, 8, v1
	v_cmp_lt_u32_e32 vcc_lo, v10, v13
	s_waitcnt lgkmcnt(0)
	v_add_f32_e32 v15, v12, v11
	v_add_lshl_u32 v11, v14, v1, 2
	s_delay_alu instid0(VALU_DEP_2)
	v_cndmask_b32_e32 v14, v12, v15, vcc_lo
	v_add_nc_u32_e32 v12, 16, v1
	ds_bpermute_b32 v15, v11, v14
	v_cmp_lt_u32_e32 vcc_lo, v12, v13
	s_waitcnt lgkmcnt(0)
	v_add_f32_e32 v15, v14, v15
	s_delay_alu instid0(VALU_DEP_1)
	v_cndmask_b32_e32 v13, v14, v15, vcc_lo
	v_cmpx_eq_u32_e32 0, v1
	s_cbranch_execz .LBB50_8
; %bb.7:
	v_lshrrev_b32_e32 v14, 3, v0
	s_delay_alu instid0(VALU_DEP_1)
	v_and_b32_e32 v14, 0x7c, v14
	ds_store_b32 v14, v13
.LBB50_8:
	s_or_b32 exec_lo, exec_lo, s7
	s_delay_alu instid0(SALU_CYCLE_1)
	s_mov_b32 s7, exec_lo
	s_waitcnt lgkmcnt(0)
	s_waitcnt_vscnt null, 0x0
	s_barrier
	buffer_gl0_inv
	v_cmpx_gt_u32_e32 32, v0
	s_cbranch_execz .LBB50_10
; %bb.9:
	v_lshlrev_b32_e32 v1, 2, v1
	ds_load_b32 v1, v1
	s_waitcnt lgkmcnt(0)
	ds_bpermute_b32 v2, v2, v1
	s_waitcnt lgkmcnt(0)
	v_dual_add_f32 v2, v1, v2 :: v_dual_add_nc_u32 v13, 31, v3
	s_delay_alu instid0(VALU_DEP_1) | instskip(NEXT) | instid1(VALU_DEP_1)
	v_lshrrev_b32_e32 v13, 5, v13
	v_cmp_lt_u32_e32 vcc_lo, v4, v13
	s_delay_alu instid0(VALU_DEP_3) | instskip(SKIP_4) | instid1(VALU_DEP_1)
	v_cndmask_b32_e32 v1, v1, v2, vcc_lo
	v_cmp_lt_u32_e32 vcc_lo, v5, v13
	ds_bpermute_b32 v2, v6, v1
	s_waitcnt lgkmcnt(0)
	v_add_f32_e32 v2, v1, v2
	v_cndmask_b32_e32 v1, v1, v2, vcc_lo
	v_cmp_lt_u32_e32 vcc_lo, v8, v13
	ds_bpermute_b32 v2, v7, v1
	s_waitcnt lgkmcnt(0)
	v_add_f32_e32 v2, v1, v2
	s_delay_alu instid0(VALU_DEP_1) | instskip(SKIP_4) | instid1(VALU_DEP_1)
	v_cndmask_b32_e32 v1, v1, v2, vcc_lo
	v_cmp_lt_u32_e32 vcc_lo, v10, v13
	ds_bpermute_b32 v2, v9, v1
	s_waitcnt lgkmcnt(0)
	v_add_f32_e32 v2, v1, v2
	v_cndmask_b32_e32 v1, v1, v2, vcc_lo
	v_cmp_lt_u32_e32 vcc_lo, v12, v13
	ds_bpermute_b32 v2, v11, v1
	s_waitcnt lgkmcnt(0)
	v_add_f32_e32 v2, v1, v2
	s_delay_alu instid0(VALU_DEP_1)
	v_cndmask_b32_e32 v13, v1, v2, vcc_lo
.LBB50_10:
	s_or_b32 exec_lo, exec_lo, s7
	s_delay_alu instid0(SALU_CYCLE_1)
	s_mov_b32 s7, exec_lo
	v_cmpx_eq_u32_e32 0, v0
	s_cbranch_execz .LBB50_12
; %bb.11:
	v_cvt_f32_i32_e32 v1, s3
	s_load_b32 s0, s[0:1], 0x20
	s_delay_alu instid0(VALU_DEP_1) | instskip(SKIP_1) | instid1(VALU_DEP_2)
	v_div_scale_f32 v2, null, v1, v1, v13
	v_div_scale_f32 v6, vcc_lo, v13, v1, v13
	v_rcp_f32_e32 v4, v2
	s_waitcnt_depctr 0xfff
	v_fma_f32 v5, -v2, v4, 1.0
	s_delay_alu instid0(VALU_DEP_1) | instskip(NEXT) | instid1(VALU_DEP_1)
	v_fmac_f32_e32 v4, v5, v4
	v_mul_f32_e32 v5, v6, v4
	s_delay_alu instid0(VALU_DEP_1) | instskip(NEXT) | instid1(VALU_DEP_1)
	v_fma_f32 v7, -v2, v5, v6
	v_fmac_f32_e32 v5, v7, v4
	s_delay_alu instid0(VALU_DEP_1) | instskip(NEXT) | instid1(VALU_DEP_1)
	v_fma_f32 v2, -v2, v5, v6
	v_div_fmas_f32 v2, v2, v4, v5
	s_delay_alu instid0(VALU_DEP_1) | instskip(SKIP_1) | instid1(VALU_DEP_1)
	v_div_fixup_f32 v1, v2, v1, v13
	s_waitcnt lgkmcnt(0)
	v_add_f32_e32 v1, s0, v1
	s_delay_alu instid0(VALU_DEP_1) | instskip(SKIP_1) | instid1(VALU_DEP_2)
	v_mul_f32_e32 v2, 0x4b800000, v1
	v_cmp_gt_f32_e32 vcc_lo, 0x800000, v1
	v_cndmask_b32_e32 v1, v1, v2, vcc_lo
	s_delay_alu instid0(VALU_DEP_1) | instskip(SKIP_2) | instid1(VALU_DEP_1)
	v_rsq_f32_e32 v1, v1
	s_waitcnt_depctr 0xfff
	v_mul_f32_e32 v2, 0x45800000, v1
	v_dual_cndmask_b32 v1, v1, v2 :: v_dual_mov_b32 v2, 0
	ds_store_b32 v2, v1 offset:128
.LBB50_12:
	s_or_b32 exec_lo, exec_lo, s7
	s_waitcnt lgkmcnt(0)
	s_barrier
	buffer_gl0_inv
	s_and_saveexec_b32 s0, s2
	s_cbranch_execz .LBB50_15
; %bb.13:
	v_mov_b32_e32 v2, 0
	s_add_i32 s7, s14, s13
	s_delay_alu instid0(SALU_CYCLE_1) | instskip(NEXT) | instid1(SALU_CYCLE_1)
	s_lshl_b64 s[6:7], s[6:7], 1
	s_add_u32 s1, s4, s6
	ds_load_b32 v4, v2 offset:128
	s_addc_u32 s2, s5, s7
	s_mov_b32 s4, 0
.LBB50_14:                              ; =>This Inner Loop Header: Depth=1
	v_add_nc_u32_e32 v1, s12, v0
	s_delay_alu instid0(VALU_DEP_1) | instskip(SKIP_1) | instid1(VALU_DEP_2)
	v_lshlrev_b64 v[5:6], 1, v[1:2]
	v_ashrrev_i32_e32 v1, 31, v0
	v_add_co_u32 v5, vcc_lo, s8, v5
	s_delay_alu instid0(VALU_DEP_3) | instskip(SKIP_3) | instid1(VALU_DEP_2)
	v_add_co_ci_u32_e32 v6, vcc_lo, s9, v6, vcc_lo
	global_load_u16 v9, v[5:6], off
	v_lshlrev_b64 v[5:6], 1, v[0:1]
	v_add_nc_u32_e32 v0, v0, v3
	v_add_co_u32 v7, vcc_lo, s10, v5
	s_delay_alu instid0(VALU_DEP_3) | instskip(SKIP_1) | instid1(VALU_DEP_1)
	v_add_co_ci_u32_e32 v8, vcc_lo, s11, v6, vcc_lo
	v_add_co_u32 v5, s0, s1, v5
	v_add_co_ci_u32_e64 v6, s0, s2, v6, s0
	global_load_u16 v1, v[7:8], off
	s_waitcnt vmcnt(1)
	v_lshlrev_b32_e32 v7, 16, v9
	s_waitcnt lgkmcnt(0)
	s_delay_alu instid0(VALU_DEP_1) | instskip(NEXT) | instid1(VALU_DEP_1)
	v_mul_f32_e32 v7, v4, v7
	v_bfe_u32 v8, v7, 16, 1
	s_delay_alu instid0(VALU_DEP_1) | instskip(SKIP_2) | instid1(VALU_DEP_2)
	v_add3_u32 v8, v7, v8, 0x7fff
	s_waitcnt vmcnt(0)
	v_lshlrev_b32_e32 v1, 16, v1
	v_and_b32_e32 v8, 0xffff0000, v8
	v_cmp_o_f32_e32 vcc_lo, v7, v7
	s_delay_alu instid0(VALU_DEP_2) | instskip(SKIP_1) | instid1(VALU_DEP_2)
	v_cndmask_b32_e32 v7, 0x7fc00000, v8, vcc_lo
	v_cmp_le_i32_e32 vcc_lo, s3, v0
	v_mul_f32_e32 v1, v7, v1
	s_or_b32 s4, vcc_lo, s4
	s_delay_alu instid0(VALU_DEP_1) | instskip(SKIP_1) | instid1(VALU_DEP_2)
	v_bfe_u32 v7, v1, 16, 1
	v_cmp_o_f32_e64 s0, v1, v1
	v_add3_u32 v7, v1, v7, 0x7fff
	s_delay_alu instid0(VALU_DEP_1) | instskip(NEXT) | instid1(VALU_DEP_1)
	v_lshrrev_b32_e32 v7, 16, v7
	v_cndmask_b32_e64 v1, 0x7fc0, v7, s0
	global_store_b16 v[5:6], v1, off
	s_and_not1_b32 exec_lo, exec_lo, s4
	s_cbranch_execnz .LBB50_14
.LBB50_15:
	s_nop 0
	s_sendmsg sendmsg(MSG_DEALLOC_VGPRS)
	s_endpgm
	.section	.rodata,"a",@progbits
	.p2align	6, 0x0
	.amdhsa_kernel _ZN4vllm25fused_add_rms_norm_kernelIN3c108BFloat16ELi0EEENSt9enable_ifIXooeqT0_Li0Entsr12_typeConvertIT_EE6existsEvE4typeEPS4_lS7_PKS4_fii
		.amdhsa_group_segment_fixed_size 132
		.amdhsa_private_segment_fixed_size 0
		.amdhsa_kernarg_size 304
		.amdhsa_user_sgpr_count 15
		.amdhsa_user_sgpr_dispatch_ptr 0
		.amdhsa_user_sgpr_queue_ptr 0
		.amdhsa_user_sgpr_kernarg_segment_ptr 1
		.amdhsa_user_sgpr_dispatch_id 0
		.amdhsa_user_sgpr_private_segment_size 0
		.amdhsa_wavefront_size32 1
		.amdhsa_uses_dynamic_stack 0
		.amdhsa_enable_private_segment 0
		.amdhsa_system_sgpr_workgroup_id_x 1
		.amdhsa_system_sgpr_workgroup_id_y 0
		.amdhsa_system_sgpr_workgroup_id_z 0
		.amdhsa_system_sgpr_workgroup_info 0
		.amdhsa_system_vgpr_workitem_id 0
		.amdhsa_next_free_vgpr 16
		.amdhsa_next_free_sgpr 21
		.amdhsa_reserve_vcc 1
		.amdhsa_float_round_mode_32 0
		.amdhsa_float_round_mode_16_64 0
		.amdhsa_float_denorm_mode_32 3
		.amdhsa_float_denorm_mode_16_64 3
		.amdhsa_dx10_clamp 1
		.amdhsa_ieee_mode 1
		.amdhsa_fp16_overflow 0
		.amdhsa_workgroup_processor_mode 1
		.amdhsa_memory_ordered 1
		.amdhsa_forward_progress 0
		.amdhsa_shared_vgpr_count 0
		.amdhsa_exception_fp_ieee_invalid_op 0
		.amdhsa_exception_fp_denorm_src 0
		.amdhsa_exception_fp_ieee_div_zero 0
		.amdhsa_exception_fp_ieee_overflow 0
		.amdhsa_exception_fp_ieee_underflow 0
		.amdhsa_exception_fp_ieee_inexact 0
		.amdhsa_exception_int_div_zero 0
	.end_amdhsa_kernel
	.section	.text._ZN4vllm25fused_add_rms_norm_kernelIN3c108BFloat16ELi0EEENSt9enable_ifIXooeqT0_Li0Entsr12_typeConvertIT_EE6existsEvE4typeEPS4_lS7_PKS4_fii,"axG",@progbits,_ZN4vllm25fused_add_rms_norm_kernelIN3c108BFloat16ELi0EEENSt9enable_ifIXooeqT0_Li0Entsr12_typeConvertIT_EE6existsEvE4typeEPS4_lS7_PKS4_fii,comdat
.Lfunc_end50:
	.size	_ZN4vllm25fused_add_rms_norm_kernelIN3c108BFloat16ELi0EEENSt9enable_ifIXooeqT0_Li0Entsr12_typeConvertIT_EE6existsEvE4typeEPS4_lS7_PKS4_fii, .Lfunc_end50-_ZN4vllm25fused_add_rms_norm_kernelIN3c108BFloat16ELi0EEENSt9enable_ifIXooeqT0_Li0Entsr12_typeConvertIT_EE6existsEvE4typeEPS4_lS7_PKS4_fii
                                        ; -- End function
	.section	.AMDGPU.csdata,"",@progbits
; Kernel info:
; codeLenInByte = 1448
; NumSgprs: 23
; NumVgprs: 16
; ScratchSize: 0
; MemoryBound: 0
; FloatMode: 240
; IeeeMode: 1
; LDSByteSize: 132 bytes/workgroup (compile time only)
; SGPRBlocks: 2
; VGPRBlocks: 1
; NumSGPRsForWavesPerEU: 23
; NumVGPRsForWavesPerEU: 16
; Occupancy: 16
; WaveLimiterHint : 0
; COMPUTE_PGM_RSRC2:SCRATCH_EN: 0
; COMPUTE_PGM_RSRC2:USER_SGPR: 15
; COMPUTE_PGM_RSRC2:TRAP_HANDLER: 0
; COMPUTE_PGM_RSRC2:TGID_X_EN: 1
; COMPUTE_PGM_RSRC2:TGID_Y_EN: 0
; COMPUTE_PGM_RSRC2:TGID_Z_EN: 0
; COMPUTE_PGM_RSRC2:TIDIG_COMP_CNT: 0
	.text
	.p2alignl 7, 3214868480
	.fill 96, 4, 3214868480
	.type	__hip_cuid_239b6836899f90ae,@object ; @__hip_cuid_239b6836899f90ae
	.section	.bss,"aw",@nobits
	.globl	__hip_cuid_239b6836899f90ae
__hip_cuid_239b6836899f90ae:
	.byte	0                               ; 0x0
	.size	__hip_cuid_239b6836899f90ae, 1

	.ident	"AMD clang version 19.0.0git (https://github.com/RadeonOpenCompute/llvm-project roc-6.4.0 25133 c7fe45cf4b819c5991fe208aaa96edf142730f1d)"
	.section	".note.GNU-stack","",@progbits
	.addrsig
	.addrsig_sym __hip_cuid_239b6836899f90ae
	.amdgpu_metadata
---
amdhsa.kernels:
  - .args:
      - .actual_access:  write_only
        .address_space:  global
        .offset:         0
        .size:           8
        .value_kind:     global_buffer
      - .address_space:  global
        .offset:         8
        .size:           8
        .value_kind:     global_buffer
      - .offset:         16
        .size:           8
        .value_kind:     by_value
      - .offset:         24
        .size:           8
        .value_kind:     by_value
      - .offset:         32
        .size:           8
        .value_kind:     by_value
      - .offset:         40
        .size:           8
        .value_kind:     by_value
      - .offset:         48
        .size:           8
        .value_kind:     by_value
      - .actual_access:  read_only
        .address_space:  global
        .offset:         56
        .size:           8
        .value_kind:     global_buffer
      - .offset:         64
        .size:           4
        .value_kind:     by_value
      - .offset:         68
        .size:           4
        .value_kind:     by_value
      - .offset:         72
        .size:           4
        .value_kind:     by_value
      - .offset:         80
        .size:           4
        .value_kind:     hidden_block_count_x
      - .offset:         84
        .size:           4
        .value_kind:     hidden_block_count_y
      - .offset:         88
        .size:           4
        .value_kind:     hidden_block_count_z
      - .offset:         92
        .size:           2
        .value_kind:     hidden_group_size_x
      - .offset:         94
        .size:           2
        .value_kind:     hidden_group_size_y
      - .offset:         96
        .size:           2
        .value_kind:     hidden_group_size_z
      - .offset:         98
        .size:           2
        .value_kind:     hidden_remainder_x
      - .offset:         100
        .size:           2
        .value_kind:     hidden_remainder_y
      - .offset:         102
        .size:           2
        .value_kind:     hidden_remainder_z
      - .offset:         120
        .size:           8
        .value_kind:     hidden_global_offset_x
      - .offset:         128
        .size:           8
        .value_kind:     hidden_global_offset_y
      - .offset:         136
        .size:           8
        .value_kind:     hidden_global_offset_z
      - .offset:         144
        .size:           2
        .value_kind:     hidden_grid_dims
    .group_segment_fixed_size: 132
    .kernarg_segment_align: 8
    .kernarg_segment_size: 336
    .language:       OpenCL C
    .language_version:
      - 2
      - 0
    .max_flat_workgroup_size: 1024
    .name:           _ZN4vllm15rms_norm_kernelIfLi16ELi2EEEvPT_PKS1_lllllS4_fii
    .private_segment_fixed_size: 0
    .sgpr_count:     22
    .sgpr_spill_count: 0
    .symbol:         _ZN4vllm15rms_norm_kernelIfLi16ELi2EEEvPT_PKS1_lllllS4_fii.kd
    .uniform_work_group_size: 1
    .uses_dynamic_stack: false
    .vgpr_count:     37
    .vgpr_spill_count: 0
    .wavefront_size: 32
    .workgroup_processor_mode: 1
  - .args:
      - .actual_access:  write_only
        .address_space:  global
        .offset:         0
        .size:           8
        .value_kind:     global_buffer
      - .address_space:  global
        .offset:         8
        .size:           8
        .value_kind:     global_buffer
      - .offset:         16
        .size:           8
        .value_kind:     by_value
      - .offset:         24
        .size:           8
        .value_kind:     by_value
      - .offset:         32
        .size:           8
        .value_kind:     by_value
      - .offset:         40
        .size:           8
        .value_kind:     by_value
      - .offset:         48
        .size:           8
        .value_kind:     by_value
      - .actual_access:  read_only
        .address_space:  global
        .offset:         56
        .size:           8
        .value_kind:     global_buffer
      - .offset:         64
        .size:           4
        .value_kind:     by_value
      - .offset:         68
        .size:           4
        .value_kind:     by_value
      - .offset:         72
        .size:           4
        .value_kind:     by_value
      - .offset:         80
        .size:           4
        .value_kind:     hidden_block_count_x
      - .offset:         84
        .size:           4
        .value_kind:     hidden_block_count_y
      - .offset:         88
        .size:           4
        .value_kind:     hidden_block_count_z
      - .offset:         92
        .size:           2
        .value_kind:     hidden_group_size_x
      - .offset:         94
        .size:           2
        .value_kind:     hidden_group_size_y
      - .offset:         96
        .size:           2
        .value_kind:     hidden_group_size_z
      - .offset:         98
        .size:           2
        .value_kind:     hidden_remainder_x
      - .offset:         100
        .size:           2
        .value_kind:     hidden_remainder_y
      - .offset:         102
        .size:           2
        .value_kind:     hidden_remainder_z
      - .offset:         120
        .size:           8
        .value_kind:     hidden_global_offset_x
      - .offset:         128
        .size:           8
        .value_kind:     hidden_global_offset_y
      - .offset:         136
        .size:           8
        .value_kind:     hidden_global_offset_z
      - .offset:         144
        .size:           2
        .value_kind:     hidden_grid_dims
    .group_segment_fixed_size: 132
    .kernarg_segment_align: 8
    .kernarg_segment_size: 336
    .language:       OpenCL C
    .language_version:
      - 2
      - 0
    .max_flat_workgroup_size: 1024
    .name:           _ZN4vllm15rms_norm_kernelIfLi8ELi2EEEvPT_PKS1_lllllS4_fii
    .private_segment_fixed_size: 0
    .sgpr_count:     22
    .sgpr_spill_count: 0
    .symbol:         _ZN4vllm15rms_norm_kernelIfLi8ELi2EEEvPT_PKS1_lllllS4_fii.kd
    .uniform_work_group_size: 1
    .uses_dynamic_stack: false
    .vgpr_count:     21
    .vgpr_spill_count: 0
    .wavefront_size: 32
    .workgroup_processor_mode: 1
  - .args:
      - .actual_access:  write_only
        .address_space:  global
        .offset:         0
        .size:           8
        .value_kind:     global_buffer
      - .address_space:  global
        .offset:         8
        .size:           8
        .value_kind:     global_buffer
      - .offset:         16
        .size:           8
        .value_kind:     by_value
      - .offset:         24
        .size:           8
        .value_kind:     by_value
      - .offset:         32
        .size:           8
        .value_kind:     by_value
      - .offset:         40
        .size:           8
        .value_kind:     by_value
      - .offset:         48
        .size:           8
        .value_kind:     by_value
      - .actual_access:  read_only
        .address_space:  global
        .offset:         56
        .size:           8
        .value_kind:     global_buffer
      - .offset:         64
        .size:           4
        .value_kind:     by_value
      - .offset:         68
        .size:           4
        .value_kind:     by_value
      - .offset:         72
        .size:           4
        .value_kind:     by_value
      - .offset:         80
        .size:           4
        .value_kind:     hidden_block_count_x
      - .offset:         84
        .size:           4
        .value_kind:     hidden_block_count_y
      - .offset:         88
        .size:           4
        .value_kind:     hidden_block_count_z
      - .offset:         92
        .size:           2
        .value_kind:     hidden_group_size_x
      - .offset:         94
        .size:           2
        .value_kind:     hidden_group_size_y
      - .offset:         96
        .size:           2
        .value_kind:     hidden_group_size_z
      - .offset:         98
        .size:           2
        .value_kind:     hidden_remainder_x
      - .offset:         100
        .size:           2
        .value_kind:     hidden_remainder_y
      - .offset:         102
        .size:           2
        .value_kind:     hidden_remainder_z
      - .offset:         120
        .size:           8
        .value_kind:     hidden_global_offset_x
      - .offset:         128
        .size:           8
        .value_kind:     hidden_global_offset_y
      - .offset:         136
        .size:           8
        .value_kind:     hidden_global_offset_z
      - .offset:         144
        .size:           2
        .value_kind:     hidden_grid_dims
    .group_segment_fixed_size: 132
    .kernarg_segment_align: 8
    .kernarg_segment_size: 336
    .language:       OpenCL C
    .language_version:
      - 2
      - 0
    .max_flat_workgroup_size: 1024
    .name:           _ZN4vllm15rms_norm_kernelIfLi4ELi2EEEvPT_PKS1_lllllS4_fii
    .private_segment_fixed_size: 0
    .sgpr_count:     22
    .sgpr_spill_count: 0
    .symbol:         _ZN4vllm15rms_norm_kernelIfLi4ELi2EEEvPT_PKS1_lllllS4_fii.kd
    .uniform_work_group_size: 1
    .uses_dynamic_stack: false
    .vgpr_count:     15
    .vgpr_spill_count: 0
    .wavefront_size: 32
    .workgroup_processor_mode: 1
  - .args:
      - .actual_access:  write_only
        .address_space:  global
        .offset:         0
        .size:           8
        .value_kind:     global_buffer
      - .address_space:  global
        .offset:         8
        .size:           8
        .value_kind:     global_buffer
      - .offset:         16
        .size:           8
        .value_kind:     by_value
      - .offset:         24
        .size:           8
        .value_kind:     by_value
      - .offset:         32
        .size:           8
        .value_kind:     by_value
      - .offset:         40
        .size:           8
        .value_kind:     by_value
      - .offset:         48
        .size:           8
        .value_kind:     by_value
      - .actual_access:  read_only
        .address_space:  global
        .offset:         56
        .size:           8
        .value_kind:     global_buffer
      - .offset:         64
        .size:           4
        .value_kind:     by_value
      - .offset:         68
        .size:           4
        .value_kind:     by_value
      - .offset:         72
        .size:           4
        .value_kind:     by_value
      - .offset:         80
        .size:           4
        .value_kind:     hidden_block_count_x
      - .offset:         84
        .size:           4
        .value_kind:     hidden_block_count_y
      - .offset:         88
        .size:           4
        .value_kind:     hidden_block_count_z
      - .offset:         92
        .size:           2
        .value_kind:     hidden_group_size_x
      - .offset:         94
        .size:           2
        .value_kind:     hidden_group_size_y
      - .offset:         96
        .size:           2
        .value_kind:     hidden_group_size_z
      - .offset:         98
        .size:           2
        .value_kind:     hidden_remainder_x
      - .offset:         100
        .size:           2
        .value_kind:     hidden_remainder_y
      - .offset:         102
        .size:           2
        .value_kind:     hidden_remainder_z
      - .offset:         120
        .size:           8
        .value_kind:     hidden_global_offset_x
      - .offset:         128
        .size:           8
        .value_kind:     hidden_global_offset_y
      - .offset:         136
        .size:           8
        .value_kind:     hidden_global_offset_z
      - .offset:         144
        .size:           2
        .value_kind:     hidden_grid_dims
    .group_segment_fixed_size: 132
    .kernarg_segment_align: 8
    .kernarg_segment_size: 336
    .language:       OpenCL C
    .language_version:
      - 2
      - 0
    .max_flat_workgroup_size: 1024
    .name:           _ZN4vllm15rms_norm_kernelIfLi2ELi2EEEvPT_PKS1_lllllS4_fii
    .private_segment_fixed_size: 0
    .sgpr_count:     20
    .sgpr_spill_count: 0
    .symbol:         _ZN4vllm15rms_norm_kernelIfLi2ELi2EEEvPT_PKS1_lllllS4_fii.kd
    .uniform_work_group_size: 1
    .uses_dynamic_stack: false
    .vgpr_count:     15
    .vgpr_spill_count: 0
    .wavefront_size: 32
    .workgroup_processor_mode: 1
  - .args:
      - .actual_access:  write_only
        .address_space:  global
        .offset:         0
        .size:           8
        .value_kind:     global_buffer
      - .address_space:  global
        .offset:         8
        .size:           8
        .value_kind:     global_buffer
      - .offset:         16
        .size:           8
        .value_kind:     by_value
      - .offset:         24
        .size:           8
        .value_kind:     by_value
      - .offset:         32
        .size:           8
        .value_kind:     by_value
      - .offset:         40
        .size:           8
        .value_kind:     by_value
      - .offset:         48
        .size:           8
        .value_kind:     by_value
      - .actual_access:  read_only
        .address_space:  global
        .offset:         56
        .size:           8
        .value_kind:     global_buffer
      - .offset:         64
        .size:           4
        .value_kind:     by_value
      - .offset:         68
        .size:           4
        .value_kind:     by_value
      - .offset:         72
        .size:           4
        .value_kind:     by_value
      - .offset:         80
        .size:           4
        .value_kind:     hidden_block_count_x
      - .offset:         84
        .size:           4
        .value_kind:     hidden_block_count_y
      - .offset:         88
        .size:           4
        .value_kind:     hidden_block_count_z
      - .offset:         92
        .size:           2
        .value_kind:     hidden_group_size_x
      - .offset:         94
        .size:           2
        .value_kind:     hidden_group_size_y
      - .offset:         96
        .size:           2
        .value_kind:     hidden_group_size_z
      - .offset:         98
        .size:           2
        .value_kind:     hidden_remainder_x
      - .offset:         100
        .size:           2
        .value_kind:     hidden_remainder_y
      - .offset:         102
        .size:           2
        .value_kind:     hidden_remainder_z
      - .offset:         120
        .size:           8
        .value_kind:     hidden_global_offset_x
      - .offset:         128
        .size:           8
        .value_kind:     hidden_global_offset_y
      - .offset:         136
        .size:           8
        .value_kind:     hidden_global_offset_z
      - .offset:         144
        .size:           2
        .value_kind:     hidden_grid_dims
    .group_segment_fixed_size: 132
    .kernarg_segment_align: 8
    .kernarg_segment_size: 336
    .language:       OpenCL C
    .language_version:
      - 2
      - 0
    .max_flat_workgroup_size: 1024
    .name:           _ZN4vllm15rms_norm_kernelIfLi1ELi2EEEvPT_PKS1_lllllS4_fii
    .private_segment_fixed_size: 0
    .sgpr_count:     18
    .sgpr_spill_count: 0
    .symbol:         _ZN4vllm15rms_norm_kernelIfLi1ELi2EEEvPT_PKS1_lllllS4_fii.kd
    .uniform_work_group_size: 1
    .uses_dynamic_stack: false
    .vgpr_count:     15
    .vgpr_spill_count: 0
    .wavefront_size: 32
    .workgroup_processor_mode: 1
  - .args:
      - .actual_access:  write_only
        .address_space:  global
        .offset:         0
        .size:           8
        .value_kind:     global_buffer
      - .address_space:  global
        .offset:         8
        .size:           8
        .value_kind:     global_buffer
      - .offset:         16
        .size:           8
        .value_kind:     by_value
      - .offset:         24
        .size:           8
        .value_kind:     by_value
      - .offset:         32
        .size:           8
        .value_kind:     by_value
      - .offset:         40
        .size:           8
        .value_kind:     by_value
      - .offset:         48
        .size:           8
        .value_kind:     by_value
      - .actual_access:  read_only
        .address_space:  global
        .offset:         56
        .size:           8
        .value_kind:     global_buffer
      - .offset:         64
        .size:           4
        .value_kind:     by_value
      - .offset:         68
        .size:           4
        .value_kind:     by_value
      - .offset:         72
        .size:           4
        .value_kind:     by_value
      - .offset:         80
        .size:           4
        .value_kind:     hidden_block_count_x
      - .offset:         84
        .size:           4
        .value_kind:     hidden_block_count_y
      - .offset:         88
        .size:           4
        .value_kind:     hidden_block_count_z
      - .offset:         92
        .size:           2
        .value_kind:     hidden_group_size_x
      - .offset:         94
        .size:           2
        .value_kind:     hidden_group_size_y
      - .offset:         96
        .size:           2
        .value_kind:     hidden_group_size_z
      - .offset:         98
        .size:           2
        .value_kind:     hidden_remainder_x
      - .offset:         100
        .size:           2
        .value_kind:     hidden_remainder_y
      - .offset:         102
        .size:           2
        .value_kind:     hidden_remainder_z
      - .offset:         120
        .size:           8
        .value_kind:     hidden_global_offset_x
      - .offset:         128
        .size:           8
        .value_kind:     hidden_global_offset_y
      - .offset:         136
        .size:           8
        .value_kind:     hidden_global_offset_z
      - .offset:         144
        .size:           2
        .value_kind:     hidden_grid_dims
    .group_segment_fixed_size: 132
    .kernarg_segment_align: 8
    .kernarg_segment_size: 336
    .language:       OpenCL C
    .language_version:
      - 2
      - 0
    .max_flat_workgroup_size: 1024
    .name:           _ZN4vllm15rms_norm_kernelIN3c104HalfELi16ELi2EEEvPT_PKS3_lllllS6_fii
    .private_segment_fixed_size: 0
    .sgpr_count:     22
    .sgpr_spill_count: 0
    .symbol:         _ZN4vllm15rms_norm_kernelIN3c104HalfELi16ELi2EEEvPT_PKS3_lllllS6_fii.kd
    .uniform_work_group_size: 1
    .uses_dynamic_stack: false
    .vgpr_count:     29
    .vgpr_spill_count: 0
    .wavefront_size: 32
    .workgroup_processor_mode: 1
  - .args:
      - .actual_access:  write_only
        .address_space:  global
        .offset:         0
        .size:           8
        .value_kind:     global_buffer
      - .address_space:  global
        .offset:         8
        .size:           8
        .value_kind:     global_buffer
      - .offset:         16
        .size:           8
        .value_kind:     by_value
      - .offset:         24
        .size:           8
        .value_kind:     by_value
      - .offset:         32
        .size:           8
        .value_kind:     by_value
      - .offset:         40
        .size:           8
        .value_kind:     by_value
      - .offset:         48
        .size:           8
        .value_kind:     by_value
      - .actual_access:  read_only
        .address_space:  global
        .offset:         56
        .size:           8
        .value_kind:     global_buffer
      - .offset:         64
        .size:           4
        .value_kind:     by_value
      - .offset:         68
        .size:           4
        .value_kind:     by_value
      - .offset:         72
        .size:           4
        .value_kind:     by_value
      - .offset:         80
        .size:           4
        .value_kind:     hidden_block_count_x
      - .offset:         84
        .size:           4
        .value_kind:     hidden_block_count_y
      - .offset:         88
        .size:           4
        .value_kind:     hidden_block_count_z
      - .offset:         92
        .size:           2
        .value_kind:     hidden_group_size_x
      - .offset:         94
        .size:           2
        .value_kind:     hidden_group_size_y
      - .offset:         96
        .size:           2
        .value_kind:     hidden_group_size_z
      - .offset:         98
        .size:           2
        .value_kind:     hidden_remainder_x
      - .offset:         100
        .size:           2
        .value_kind:     hidden_remainder_y
      - .offset:         102
        .size:           2
        .value_kind:     hidden_remainder_z
      - .offset:         120
        .size:           8
        .value_kind:     hidden_global_offset_x
      - .offset:         128
        .size:           8
        .value_kind:     hidden_global_offset_y
      - .offset:         136
        .size:           8
        .value_kind:     hidden_global_offset_z
      - .offset:         144
        .size:           2
        .value_kind:     hidden_grid_dims
    .group_segment_fixed_size: 132
    .kernarg_segment_align: 8
    .kernarg_segment_size: 336
    .language:       OpenCL C
    .language_version:
      - 2
      - 0
    .max_flat_workgroup_size: 1024
    .name:           _ZN4vllm15rms_norm_kernelIN3c104HalfELi8ELi2EEEvPT_PKS3_lllllS6_fii
    .private_segment_fixed_size: 0
    .sgpr_count:     22
    .sgpr_spill_count: 0
    .symbol:         _ZN4vllm15rms_norm_kernelIN3c104HalfELi8ELi2EEEvPT_PKS3_lllllS6_fii.kd
    .uniform_work_group_size: 1
    .uses_dynamic_stack: false
    .vgpr_count:     17
    .vgpr_spill_count: 0
    .wavefront_size: 32
    .workgroup_processor_mode: 1
  - .args:
      - .actual_access:  write_only
        .address_space:  global
        .offset:         0
        .size:           8
        .value_kind:     global_buffer
      - .address_space:  global
        .offset:         8
        .size:           8
        .value_kind:     global_buffer
      - .offset:         16
        .size:           8
        .value_kind:     by_value
      - .offset:         24
        .size:           8
        .value_kind:     by_value
      - .offset:         32
        .size:           8
        .value_kind:     by_value
      - .offset:         40
        .size:           8
        .value_kind:     by_value
      - .offset:         48
        .size:           8
        .value_kind:     by_value
      - .actual_access:  read_only
        .address_space:  global
        .offset:         56
        .size:           8
        .value_kind:     global_buffer
      - .offset:         64
        .size:           4
        .value_kind:     by_value
      - .offset:         68
        .size:           4
        .value_kind:     by_value
      - .offset:         72
        .size:           4
        .value_kind:     by_value
      - .offset:         80
        .size:           4
        .value_kind:     hidden_block_count_x
      - .offset:         84
        .size:           4
        .value_kind:     hidden_block_count_y
      - .offset:         88
        .size:           4
        .value_kind:     hidden_block_count_z
      - .offset:         92
        .size:           2
        .value_kind:     hidden_group_size_x
      - .offset:         94
        .size:           2
        .value_kind:     hidden_group_size_y
      - .offset:         96
        .size:           2
        .value_kind:     hidden_group_size_z
      - .offset:         98
        .size:           2
        .value_kind:     hidden_remainder_x
      - .offset:         100
        .size:           2
        .value_kind:     hidden_remainder_y
      - .offset:         102
        .size:           2
        .value_kind:     hidden_remainder_z
      - .offset:         120
        .size:           8
        .value_kind:     hidden_global_offset_x
      - .offset:         128
        .size:           8
        .value_kind:     hidden_global_offset_y
      - .offset:         136
        .size:           8
        .value_kind:     hidden_global_offset_z
      - .offset:         144
        .size:           2
        .value_kind:     hidden_grid_dims
    .group_segment_fixed_size: 132
    .kernarg_segment_align: 8
    .kernarg_segment_size: 336
    .language:       OpenCL C
    .language_version:
      - 2
      - 0
    .max_flat_workgroup_size: 1024
    .name:           _ZN4vllm15rms_norm_kernelIN3c104HalfELi4ELi2EEEvPT_PKS3_lllllS6_fii
    .private_segment_fixed_size: 0
    .sgpr_count:     20
    .sgpr_spill_count: 0
    .symbol:         _ZN4vllm15rms_norm_kernelIN3c104HalfELi4ELi2EEEvPT_PKS3_lllllS6_fii.kd
    .uniform_work_group_size: 1
    .uses_dynamic_stack: false
    .vgpr_count:     15
    .vgpr_spill_count: 0
    .wavefront_size: 32
    .workgroup_processor_mode: 1
  - .args:
      - .actual_access:  write_only
        .address_space:  global
        .offset:         0
        .size:           8
        .value_kind:     global_buffer
      - .address_space:  global
        .offset:         8
        .size:           8
        .value_kind:     global_buffer
      - .offset:         16
        .size:           8
        .value_kind:     by_value
      - .offset:         24
        .size:           8
        .value_kind:     by_value
      - .offset:         32
        .size:           8
        .value_kind:     by_value
      - .offset:         40
        .size:           8
        .value_kind:     by_value
      - .offset:         48
        .size:           8
        .value_kind:     by_value
      - .actual_access:  read_only
        .address_space:  global
        .offset:         56
        .size:           8
        .value_kind:     global_buffer
      - .offset:         64
        .size:           4
        .value_kind:     by_value
      - .offset:         68
        .size:           4
        .value_kind:     by_value
      - .offset:         72
        .size:           4
        .value_kind:     by_value
      - .offset:         80
        .size:           4
        .value_kind:     hidden_block_count_x
      - .offset:         84
        .size:           4
        .value_kind:     hidden_block_count_y
      - .offset:         88
        .size:           4
        .value_kind:     hidden_block_count_z
      - .offset:         92
        .size:           2
        .value_kind:     hidden_group_size_x
      - .offset:         94
        .size:           2
        .value_kind:     hidden_group_size_y
      - .offset:         96
        .size:           2
        .value_kind:     hidden_group_size_z
      - .offset:         98
        .size:           2
        .value_kind:     hidden_remainder_x
      - .offset:         100
        .size:           2
        .value_kind:     hidden_remainder_y
      - .offset:         102
        .size:           2
        .value_kind:     hidden_remainder_z
      - .offset:         120
        .size:           8
        .value_kind:     hidden_global_offset_x
      - .offset:         128
        .size:           8
        .value_kind:     hidden_global_offset_y
      - .offset:         136
        .size:           8
        .value_kind:     hidden_global_offset_z
      - .offset:         144
        .size:           2
        .value_kind:     hidden_grid_dims
    .group_segment_fixed_size: 132
    .kernarg_segment_align: 8
    .kernarg_segment_size: 336
    .language:       OpenCL C
    .language_version:
      - 2
      - 0
    .max_flat_workgroup_size: 1024
    .name:           _ZN4vllm15rms_norm_kernelIN3c104HalfELi2ELi2EEEvPT_PKS3_lllllS6_fii
    .private_segment_fixed_size: 0
    .sgpr_count:     22
    .sgpr_spill_count: 0
    .symbol:         _ZN4vllm15rms_norm_kernelIN3c104HalfELi2ELi2EEEvPT_PKS3_lllllS6_fii.kd
    .uniform_work_group_size: 1
    .uses_dynamic_stack: false
    .vgpr_count:     21
    .vgpr_spill_count: 0
    .wavefront_size: 32
    .workgroup_processor_mode: 1
  - .args:
      - .actual_access:  write_only
        .address_space:  global
        .offset:         0
        .size:           8
        .value_kind:     global_buffer
      - .address_space:  global
        .offset:         8
        .size:           8
        .value_kind:     global_buffer
      - .offset:         16
        .size:           8
        .value_kind:     by_value
      - .offset:         24
        .size:           8
        .value_kind:     by_value
      - .offset:         32
        .size:           8
        .value_kind:     by_value
      - .offset:         40
        .size:           8
        .value_kind:     by_value
      - .offset:         48
        .size:           8
        .value_kind:     by_value
      - .actual_access:  read_only
        .address_space:  global
        .offset:         56
        .size:           8
        .value_kind:     global_buffer
      - .offset:         64
        .size:           4
        .value_kind:     by_value
      - .offset:         68
        .size:           4
        .value_kind:     by_value
      - .offset:         72
        .size:           4
        .value_kind:     by_value
      - .offset:         80
        .size:           4
        .value_kind:     hidden_block_count_x
      - .offset:         84
        .size:           4
        .value_kind:     hidden_block_count_y
      - .offset:         88
        .size:           4
        .value_kind:     hidden_block_count_z
      - .offset:         92
        .size:           2
        .value_kind:     hidden_group_size_x
      - .offset:         94
        .size:           2
        .value_kind:     hidden_group_size_y
      - .offset:         96
        .size:           2
        .value_kind:     hidden_group_size_z
      - .offset:         98
        .size:           2
        .value_kind:     hidden_remainder_x
      - .offset:         100
        .size:           2
        .value_kind:     hidden_remainder_y
      - .offset:         102
        .size:           2
        .value_kind:     hidden_remainder_z
      - .offset:         120
        .size:           8
        .value_kind:     hidden_global_offset_x
      - .offset:         128
        .size:           8
        .value_kind:     hidden_global_offset_y
      - .offset:         136
        .size:           8
        .value_kind:     hidden_global_offset_z
      - .offset:         144
        .size:           2
        .value_kind:     hidden_grid_dims
    .group_segment_fixed_size: 132
    .kernarg_segment_align: 8
    .kernarg_segment_size: 336
    .language:       OpenCL C
    .language_version:
      - 2
      - 0
    .max_flat_workgroup_size: 1024
    .name:           _ZN4vllm15rms_norm_kernelIN3c104HalfELi1ELi2EEEvPT_PKS3_lllllS6_fii
    .private_segment_fixed_size: 0
    .sgpr_count:     19
    .sgpr_spill_count: 0
    .symbol:         _ZN4vllm15rms_norm_kernelIN3c104HalfELi1ELi2EEEvPT_PKS3_lllllS6_fii.kd
    .uniform_work_group_size: 1
    .uses_dynamic_stack: false
    .vgpr_count:     15
    .vgpr_spill_count: 0
    .wavefront_size: 32
    .workgroup_processor_mode: 1
  - .args:
      - .actual_access:  write_only
        .address_space:  global
        .offset:         0
        .size:           8
        .value_kind:     global_buffer
      - .address_space:  global
        .offset:         8
        .size:           8
        .value_kind:     global_buffer
      - .offset:         16
        .size:           8
        .value_kind:     by_value
      - .offset:         24
        .size:           8
        .value_kind:     by_value
      - .offset:         32
        .size:           8
        .value_kind:     by_value
      - .offset:         40
        .size:           8
        .value_kind:     by_value
      - .offset:         48
        .size:           8
        .value_kind:     by_value
      - .actual_access:  read_only
        .address_space:  global
        .offset:         56
        .size:           8
        .value_kind:     global_buffer
      - .offset:         64
        .size:           4
        .value_kind:     by_value
      - .offset:         68
        .size:           4
        .value_kind:     by_value
      - .offset:         72
        .size:           4
        .value_kind:     by_value
      - .offset:         80
        .size:           4
        .value_kind:     hidden_block_count_x
      - .offset:         84
        .size:           4
        .value_kind:     hidden_block_count_y
      - .offset:         88
        .size:           4
        .value_kind:     hidden_block_count_z
      - .offset:         92
        .size:           2
        .value_kind:     hidden_group_size_x
      - .offset:         94
        .size:           2
        .value_kind:     hidden_group_size_y
      - .offset:         96
        .size:           2
        .value_kind:     hidden_group_size_z
      - .offset:         98
        .size:           2
        .value_kind:     hidden_remainder_x
      - .offset:         100
        .size:           2
        .value_kind:     hidden_remainder_y
      - .offset:         102
        .size:           2
        .value_kind:     hidden_remainder_z
      - .offset:         120
        .size:           8
        .value_kind:     hidden_global_offset_x
      - .offset:         128
        .size:           8
        .value_kind:     hidden_global_offset_y
      - .offset:         136
        .size:           8
        .value_kind:     hidden_global_offset_z
      - .offset:         144
        .size:           2
        .value_kind:     hidden_grid_dims
    .group_segment_fixed_size: 132
    .kernarg_segment_align: 8
    .kernarg_segment_size: 336
    .language:       OpenCL C
    .language_version:
      - 2
      - 0
    .max_flat_workgroup_size: 1024
    .name:           _ZN4vllm15rms_norm_kernelIN3c108BFloat16ELi16ELi2EEEvPT_PKS3_lllllS6_fii
    .private_segment_fixed_size: 0
    .sgpr_count:     29
    .sgpr_spill_count: 0
    .symbol:         _ZN4vllm15rms_norm_kernelIN3c108BFloat16ELi16ELi2EEEvPT_PKS3_lllllS6_fii.kd
    .uniform_work_group_size: 1
    .uses_dynamic_stack: false
    .vgpr_count:     94
    .vgpr_spill_count: 0
    .wavefront_size: 32
    .workgroup_processor_mode: 1
  - .args:
      - .actual_access:  write_only
        .address_space:  global
        .offset:         0
        .size:           8
        .value_kind:     global_buffer
      - .address_space:  global
        .offset:         8
        .size:           8
        .value_kind:     global_buffer
      - .offset:         16
        .size:           8
        .value_kind:     by_value
      - .offset:         24
        .size:           8
        .value_kind:     by_value
      - .offset:         32
        .size:           8
        .value_kind:     by_value
      - .offset:         40
        .size:           8
        .value_kind:     by_value
      - .offset:         48
        .size:           8
        .value_kind:     by_value
      - .actual_access:  read_only
        .address_space:  global
        .offset:         56
        .size:           8
        .value_kind:     global_buffer
      - .offset:         64
        .size:           4
        .value_kind:     by_value
      - .offset:         68
        .size:           4
        .value_kind:     by_value
      - .offset:         72
        .size:           4
        .value_kind:     by_value
      - .offset:         80
        .size:           4
        .value_kind:     hidden_block_count_x
      - .offset:         84
        .size:           4
        .value_kind:     hidden_block_count_y
      - .offset:         88
        .size:           4
        .value_kind:     hidden_block_count_z
      - .offset:         92
        .size:           2
        .value_kind:     hidden_group_size_x
      - .offset:         94
        .size:           2
        .value_kind:     hidden_group_size_y
      - .offset:         96
        .size:           2
        .value_kind:     hidden_group_size_z
      - .offset:         98
        .size:           2
        .value_kind:     hidden_remainder_x
      - .offset:         100
        .size:           2
        .value_kind:     hidden_remainder_y
      - .offset:         102
        .size:           2
        .value_kind:     hidden_remainder_z
      - .offset:         120
        .size:           8
        .value_kind:     hidden_global_offset_x
      - .offset:         128
        .size:           8
        .value_kind:     hidden_global_offset_y
      - .offset:         136
        .size:           8
        .value_kind:     hidden_global_offset_z
      - .offset:         144
        .size:           2
        .value_kind:     hidden_grid_dims
    .group_segment_fixed_size: 132
    .kernarg_segment_align: 8
    .kernarg_segment_size: 336
    .language:       OpenCL C
    .language_version:
      - 2
      - 0
    .max_flat_workgroup_size: 1024
    .name:           _ZN4vllm15rms_norm_kernelIN3c108BFloat16ELi8ELi2EEEvPT_PKS3_lllllS6_fii
    .private_segment_fixed_size: 0
    .sgpr_count:     22
    .sgpr_spill_count: 0
    .symbol:         _ZN4vllm15rms_norm_kernelIN3c108BFloat16ELi8ELi2EEEvPT_PKS3_lllllS6_fii.kd
    .uniform_work_group_size: 1
    .uses_dynamic_stack: false
    .vgpr_count:     60
    .vgpr_spill_count: 0
    .wavefront_size: 32
    .workgroup_processor_mode: 1
  - .args:
      - .actual_access:  write_only
        .address_space:  global
        .offset:         0
        .size:           8
        .value_kind:     global_buffer
      - .address_space:  global
        .offset:         8
        .size:           8
        .value_kind:     global_buffer
      - .offset:         16
        .size:           8
        .value_kind:     by_value
      - .offset:         24
        .size:           8
        .value_kind:     by_value
      - .offset:         32
        .size:           8
        .value_kind:     by_value
      - .offset:         40
        .size:           8
        .value_kind:     by_value
      - .offset:         48
        .size:           8
        .value_kind:     by_value
      - .actual_access:  read_only
        .address_space:  global
        .offset:         56
        .size:           8
        .value_kind:     global_buffer
      - .offset:         64
        .size:           4
        .value_kind:     by_value
      - .offset:         68
        .size:           4
        .value_kind:     by_value
      - .offset:         72
        .size:           4
        .value_kind:     by_value
      - .offset:         80
        .size:           4
        .value_kind:     hidden_block_count_x
      - .offset:         84
        .size:           4
        .value_kind:     hidden_block_count_y
      - .offset:         88
        .size:           4
        .value_kind:     hidden_block_count_z
      - .offset:         92
        .size:           2
        .value_kind:     hidden_group_size_x
      - .offset:         94
        .size:           2
        .value_kind:     hidden_group_size_y
      - .offset:         96
        .size:           2
        .value_kind:     hidden_group_size_z
      - .offset:         98
        .size:           2
        .value_kind:     hidden_remainder_x
      - .offset:         100
        .size:           2
        .value_kind:     hidden_remainder_y
      - .offset:         102
        .size:           2
        .value_kind:     hidden_remainder_z
      - .offset:         120
        .size:           8
        .value_kind:     hidden_global_offset_x
      - .offset:         128
        .size:           8
        .value_kind:     hidden_global_offset_y
      - .offset:         136
        .size:           8
        .value_kind:     hidden_global_offset_z
      - .offset:         144
        .size:           2
        .value_kind:     hidden_grid_dims
    .group_segment_fixed_size: 132
    .kernarg_segment_align: 8
    .kernarg_segment_size: 336
    .language:       OpenCL C
    .language_version:
      - 2
      - 0
    .max_flat_workgroup_size: 1024
    .name:           _ZN4vllm15rms_norm_kernelIN3c108BFloat16ELi4ELi2EEEvPT_PKS3_lllllS6_fii
    .private_segment_fixed_size: 0
    .sgpr_count:     22
    .sgpr_spill_count: 0
    .symbol:         _ZN4vllm15rms_norm_kernelIN3c108BFloat16ELi4ELi2EEEvPT_PKS3_lllllS6_fii.kd
    .uniform_work_group_size: 1
    .uses_dynamic_stack: false
    .vgpr_count:     18
    .vgpr_spill_count: 0
    .wavefront_size: 32
    .workgroup_processor_mode: 1
  - .args:
      - .actual_access:  write_only
        .address_space:  global
        .offset:         0
        .size:           8
        .value_kind:     global_buffer
      - .address_space:  global
        .offset:         8
        .size:           8
        .value_kind:     global_buffer
      - .offset:         16
        .size:           8
        .value_kind:     by_value
      - .offset:         24
        .size:           8
        .value_kind:     by_value
      - .offset:         32
        .size:           8
        .value_kind:     by_value
      - .offset:         40
        .size:           8
        .value_kind:     by_value
      - .offset:         48
        .size:           8
        .value_kind:     by_value
      - .actual_access:  read_only
        .address_space:  global
        .offset:         56
        .size:           8
        .value_kind:     global_buffer
      - .offset:         64
        .size:           4
        .value_kind:     by_value
      - .offset:         68
        .size:           4
        .value_kind:     by_value
      - .offset:         72
        .size:           4
        .value_kind:     by_value
      - .offset:         80
        .size:           4
        .value_kind:     hidden_block_count_x
      - .offset:         84
        .size:           4
        .value_kind:     hidden_block_count_y
      - .offset:         88
        .size:           4
        .value_kind:     hidden_block_count_z
      - .offset:         92
        .size:           2
        .value_kind:     hidden_group_size_x
      - .offset:         94
        .size:           2
        .value_kind:     hidden_group_size_y
      - .offset:         96
        .size:           2
        .value_kind:     hidden_group_size_z
      - .offset:         98
        .size:           2
        .value_kind:     hidden_remainder_x
      - .offset:         100
        .size:           2
        .value_kind:     hidden_remainder_y
      - .offset:         102
        .size:           2
        .value_kind:     hidden_remainder_z
      - .offset:         120
        .size:           8
        .value_kind:     hidden_global_offset_x
      - .offset:         128
        .size:           8
        .value_kind:     hidden_global_offset_y
      - .offset:         136
        .size:           8
        .value_kind:     hidden_global_offset_z
      - .offset:         144
        .size:           2
        .value_kind:     hidden_grid_dims
    .group_segment_fixed_size: 132
    .kernarg_segment_align: 8
    .kernarg_segment_size: 336
    .language:       OpenCL C
    .language_version:
      - 2
      - 0
    .max_flat_workgroup_size: 1024
    .name:           _ZN4vllm15rms_norm_kernelIN3c108BFloat16ELi2ELi2EEEvPT_PKS3_lllllS6_fii
    .private_segment_fixed_size: 0
    .sgpr_count:     22
    .sgpr_spill_count: 0
    .symbol:         _ZN4vllm15rms_norm_kernelIN3c108BFloat16ELi2ELi2EEEvPT_PKS3_lllllS6_fii.kd
    .uniform_work_group_size: 1
    .uses_dynamic_stack: false
    .vgpr_count:     15
    .vgpr_spill_count: 0
    .wavefront_size: 32
    .workgroup_processor_mode: 1
  - .args:
      - .actual_access:  write_only
        .address_space:  global
        .offset:         0
        .size:           8
        .value_kind:     global_buffer
      - .address_space:  global
        .offset:         8
        .size:           8
        .value_kind:     global_buffer
      - .offset:         16
        .size:           8
        .value_kind:     by_value
      - .offset:         24
        .size:           8
        .value_kind:     by_value
      - .offset:         32
        .size:           8
        .value_kind:     by_value
      - .offset:         40
        .size:           8
        .value_kind:     by_value
      - .offset:         48
        .size:           8
        .value_kind:     by_value
      - .actual_access:  read_only
        .address_space:  global
        .offset:         56
        .size:           8
        .value_kind:     global_buffer
      - .offset:         64
        .size:           4
        .value_kind:     by_value
      - .offset:         68
        .size:           4
        .value_kind:     by_value
      - .offset:         72
        .size:           4
        .value_kind:     by_value
      - .offset:         80
        .size:           4
        .value_kind:     hidden_block_count_x
      - .offset:         84
        .size:           4
        .value_kind:     hidden_block_count_y
      - .offset:         88
        .size:           4
        .value_kind:     hidden_block_count_z
      - .offset:         92
        .size:           2
        .value_kind:     hidden_group_size_x
      - .offset:         94
        .size:           2
        .value_kind:     hidden_group_size_y
      - .offset:         96
        .size:           2
        .value_kind:     hidden_group_size_z
      - .offset:         98
        .size:           2
        .value_kind:     hidden_remainder_x
      - .offset:         100
        .size:           2
        .value_kind:     hidden_remainder_y
      - .offset:         102
        .size:           2
        .value_kind:     hidden_remainder_z
      - .offset:         120
        .size:           8
        .value_kind:     hidden_global_offset_x
      - .offset:         128
        .size:           8
        .value_kind:     hidden_global_offset_y
      - .offset:         136
        .size:           8
        .value_kind:     hidden_global_offset_z
      - .offset:         144
        .size:           2
        .value_kind:     hidden_grid_dims
    .group_segment_fixed_size: 132
    .kernarg_segment_align: 8
    .kernarg_segment_size: 336
    .language:       OpenCL C
    .language_version:
      - 2
      - 0
    .max_flat_workgroup_size: 1024
    .name:           _ZN4vllm15rms_norm_kernelIN3c108BFloat16ELi1ELi2EEEvPT_PKS3_lllllS6_fii
    .private_segment_fixed_size: 0
    .sgpr_count:     19
    .sgpr_spill_count: 0
    .symbol:         _ZN4vllm15rms_norm_kernelIN3c108BFloat16ELi1ELi2EEEvPT_PKS3_lllllS6_fii.kd
    .uniform_work_group_size: 1
    .uses_dynamic_stack: false
    .vgpr_count:     15
    .vgpr_spill_count: 0
    .wavefront_size: 32
    .workgroup_processor_mode: 1
  - .args:
      - .actual_access:  write_only
        .address_space:  global
        .offset:         0
        .size:           8
        .value_kind:     global_buffer
      - .address_space:  global
        .offset:         8
        .size:           8
        .value_kind:     global_buffer
      - .offset:         16
        .size:           8
        .value_kind:     by_value
      - .offset:         24
        .size:           8
        .value_kind:     by_value
      - .offset:         32
        .size:           8
        .value_kind:     by_value
      - .offset:         40
        .size:           8
        .value_kind:     by_value
      - .offset:         48
        .size:           8
        .value_kind:     by_value
      - .actual_access:  read_only
        .address_space:  global
        .offset:         56
        .size:           8
        .value_kind:     global_buffer
      - .offset:         64
        .size:           4
        .value_kind:     by_value
      - .offset:         68
        .size:           4
        .value_kind:     by_value
      - .offset:         72
        .size:           4
        .value_kind:     by_value
      - .offset:         80
        .size:           4
        .value_kind:     hidden_block_count_x
      - .offset:         84
        .size:           4
        .value_kind:     hidden_block_count_y
      - .offset:         88
        .size:           4
        .value_kind:     hidden_block_count_z
      - .offset:         92
        .size:           2
        .value_kind:     hidden_group_size_x
      - .offset:         94
        .size:           2
        .value_kind:     hidden_group_size_y
      - .offset:         96
        .size:           2
        .value_kind:     hidden_group_size_z
      - .offset:         98
        .size:           2
        .value_kind:     hidden_remainder_x
      - .offset:         100
        .size:           2
        .value_kind:     hidden_remainder_y
      - .offset:         102
        .size:           2
        .value_kind:     hidden_remainder_z
      - .offset:         120
        .size:           8
        .value_kind:     hidden_global_offset_x
      - .offset:         128
        .size:           8
        .value_kind:     hidden_global_offset_y
      - .offset:         136
        .size:           8
        .value_kind:     hidden_global_offset_z
      - .offset:         144
        .size:           2
        .value_kind:     hidden_grid_dims
    .group_segment_fixed_size: 132
    .kernarg_segment_align: 8
    .kernarg_segment_size: 336
    .language:       OpenCL C
    .language_version:
      - 2
      - 0
    .max_flat_workgroup_size: 1024
    .name:           _ZN4vllm15rms_norm_kernelIfLi16ELi3EEEvPT_PKS1_lllllS4_fii
    .private_segment_fixed_size: 0
    .sgpr_count:     24
    .sgpr_spill_count: 0
    .symbol:         _ZN4vllm15rms_norm_kernelIfLi16ELi3EEEvPT_PKS1_lllllS4_fii.kd
    .uniform_work_group_size: 1
    .uses_dynamic_stack: false
    .vgpr_count:     37
    .vgpr_spill_count: 0
    .wavefront_size: 32
    .workgroup_processor_mode: 1
  - .args:
      - .actual_access:  write_only
        .address_space:  global
        .offset:         0
        .size:           8
        .value_kind:     global_buffer
      - .address_space:  global
        .offset:         8
        .size:           8
        .value_kind:     global_buffer
      - .offset:         16
        .size:           8
        .value_kind:     by_value
      - .offset:         24
        .size:           8
        .value_kind:     by_value
      - .offset:         32
        .size:           8
        .value_kind:     by_value
      - .offset:         40
        .size:           8
        .value_kind:     by_value
      - .offset:         48
        .size:           8
        .value_kind:     by_value
      - .actual_access:  read_only
        .address_space:  global
        .offset:         56
        .size:           8
        .value_kind:     global_buffer
      - .offset:         64
        .size:           4
        .value_kind:     by_value
      - .offset:         68
        .size:           4
        .value_kind:     by_value
      - .offset:         72
        .size:           4
        .value_kind:     by_value
      - .offset:         80
        .size:           4
        .value_kind:     hidden_block_count_x
      - .offset:         84
        .size:           4
        .value_kind:     hidden_block_count_y
      - .offset:         88
        .size:           4
        .value_kind:     hidden_block_count_z
      - .offset:         92
        .size:           2
        .value_kind:     hidden_group_size_x
      - .offset:         94
        .size:           2
        .value_kind:     hidden_group_size_y
      - .offset:         96
        .size:           2
        .value_kind:     hidden_group_size_z
      - .offset:         98
        .size:           2
        .value_kind:     hidden_remainder_x
      - .offset:         100
        .size:           2
        .value_kind:     hidden_remainder_y
      - .offset:         102
        .size:           2
        .value_kind:     hidden_remainder_z
      - .offset:         120
        .size:           8
        .value_kind:     hidden_global_offset_x
      - .offset:         128
        .size:           8
        .value_kind:     hidden_global_offset_y
      - .offset:         136
        .size:           8
        .value_kind:     hidden_global_offset_z
      - .offset:         144
        .size:           2
        .value_kind:     hidden_grid_dims
    .group_segment_fixed_size: 132
    .kernarg_segment_align: 8
    .kernarg_segment_size: 336
    .language:       OpenCL C
    .language_version:
      - 2
      - 0
    .max_flat_workgroup_size: 1024
    .name:           _ZN4vllm15rms_norm_kernelIfLi8ELi3EEEvPT_PKS1_lllllS4_fii
    .private_segment_fixed_size: 0
    .sgpr_count:     24
    .sgpr_spill_count: 0
    .symbol:         _ZN4vllm15rms_norm_kernelIfLi8ELi3EEEvPT_PKS1_lllllS4_fii.kd
    .uniform_work_group_size: 1
    .uses_dynamic_stack: false
    .vgpr_count:     21
    .vgpr_spill_count: 0
    .wavefront_size: 32
    .workgroup_processor_mode: 1
  - .args:
      - .actual_access:  write_only
        .address_space:  global
        .offset:         0
        .size:           8
        .value_kind:     global_buffer
      - .address_space:  global
        .offset:         8
        .size:           8
        .value_kind:     global_buffer
      - .offset:         16
        .size:           8
        .value_kind:     by_value
      - .offset:         24
        .size:           8
        .value_kind:     by_value
      - .offset:         32
        .size:           8
        .value_kind:     by_value
      - .offset:         40
        .size:           8
        .value_kind:     by_value
      - .offset:         48
        .size:           8
        .value_kind:     by_value
      - .actual_access:  read_only
        .address_space:  global
        .offset:         56
        .size:           8
        .value_kind:     global_buffer
      - .offset:         64
        .size:           4
        .value_kind:     by_value
      - .offset:         68
        .size:           4
        .value_kind:     by_value
      - .offset:         72
        .size:           4
        .value_kind:     by_value
      - .offset:         80
        .size:           4
        .value_kind:     hidden_block_count_x
      - .offset:         84
        .size:           4
        .value_kind:     hidden_block_count_y
      - .offset:         88
        .size:           4
        .value_kind:     hidden_block_count_z
      - .offset:         92
        .size:           2
        .value_kind:     hidden_group_size_x
      - .offset:         94
        .size:           2
        .value_kind:     hidden_group_size_y
      - .offset:         96
        .size:           2
        .value_kind:     hidden_group_size_z
      - .offset:         98
        .size:           2
        .value_kind:     hidden_remainder_x
      - .offset:         100
        .size:           2
        .value_kind:     hidden_remainder_y
      - .offset:         102
        .size:           2
        .value_kind:     hidden_remainder_z
      - .offset:         120
        .size:           8
        .value_kind:     hidden_global_offset_x
      - .offset:         128
        .size:           8
        .value_kind:     hidden_global_offset_y
      - .offset:         136
        .size:           8
        .value_kind:     hidden_global_offset_z
      - .offset:         144
        .size:           2
        .value_kind:     hidden_grid_dims
    .group_segment_fixed_size: 132
    .kernarg_segment_align: 8
    .kernarg_segment_size: 336
    .language:       OpenCL C
    .language_version:
      - 2
      - 0
    .max_flat_workgroup_size: 1024
    .name:           _ZN4vllm15rms_norm_kernelIfLi4ELi3EEEvPT_PKS1_lllllS4_fii
    .private_segment_fixed_size: 0
    .sgpr_count:     24
    .sgpr_spill_count: 0
    .symbol:         _ZN4vllm15rms_norm_kernelIfLi4ELi3EEEvPT_PKS1_lllllS4_fii.kd
    .uniform_work_group_size: 1
    .uses_dynamic_stack: false
    .vgpr_count:     15
    .vgpr_spill_count: 0
    .wavefront_size: 32
    .workgroup_processor_mode: 1
  - .args:
      - .actual_access:  write_only
        .address_space:  global
        .offset:         0
        .size:           8
        .value_kind:     global_buffer
      - .address_space:  global
        .offset:         8
        .size:           8
        .value_kind:     global_buffer
      - .offset:         16
        .size:           8
        .value_kind:     by_value
      - .offset:         24
        .size:           8
        .value_kind:     by_value
      - .offset:         32
        .size:           8
        .value_kind:     by_value
      - .offset:         40
        .size:           8
        .value_kind:     by_value
      - .offset:         48
        .size:           8
        .value_kind:     by_value
      - .actual_access:  read_only
        .address_space:  global
        .offset:         56
        .size:           8
        .value_kind:     global_buffer
      - .offset:         64
        .size:           4
        .value_kind:     by_value
      - .offset:         68
        .size:           4
        .value_kind:     by_value
      - .offset:         72
        .size:           4
        .value_kind:     by_value
      - .offset:         80
        .size:           4
        .value_kind:     hidden_block_count_x
      - .offset:         84
        .size:           4
        .value_kind:     hidden_block_count_y
      - .offset:         88
        .size:           4
        .value_kind:     hidden_block_count_z
      - .offset:         92
        .size:           2
        .value_kind:     hidden_group_size_x
      - .offset:         94
        .size:           2
        .value_kind:     hidden_group_size_y
      - .offset:         96
        .size:           2
        .value_kind:     hidden_group_size_z
      - .offset:         98
        .size:           2
        .value_kind:     hidden_remainder_x
      - .offset:         100
        .size:           2
        .value_kind:     hidden_remainder_y
      - .offset:         102
        .size:           2
        .value_kind:     hidden_remainder_z
      - .offset:         120
        .size:           8
        .value_kind:     hidden_global_offset_x
      - .offset:         128
        .size:           8
        .value_kind:     hidden_global_offset_y
      - .offset:         136
        .size:           8
        .value_kind:     hidden_global_offset_z
      - .offset:         144
        .size:           2
        .value_kind:     hidden_grid_dims
    .group_segment_fixed_size: 132
    .kernarg_segment_align: 8
    .kernarg_segment_size: 336
    .language:       OpenCL C
    .language_version:
      - 2
      - 0
    .max_flat_workgroup_size: 1024
    .name:           _ZN4vllm15rms_norm_kernelIfLi2ELi3EEEvPT_PKS1_lllllS4_fii
    .private_segment_fixed_size: 0
    .sgpr_count:     23
    .sgpr_spill_count: 0
    .symbol:         _ZN4vllm15rms_norm_kernelIfLi2ELi3EEEvPT_PKS1_lllllS4_fii.kd
    .uniform_work_group_size: 1
    .uses_dynamic_stack: false
    .vgpr_count:     15
    .vgpr_spill_count: 0
    .wavefront_size: 32
    .workgroup_processor_mode: 1
  - .args:
      - .actual_access:  write_only
        .address_space:  global
        .offset:         0
        .size:           8
        .value_kind:     global_buffer
      - .address_space:  global
        .offset:         8
        .size:           8
        .value_kind:     global_buffer
      - .offset:         16
        .size:           8
        .value_kind:     by_value
      - .offset:         24
        .size:           8
        .value_kind:     by_value
      - .offset:         32
        .size:           8
        .value_kind:     by_value
      - .offset:         40
        .size:           8
        .value_kind:     by_value
      - .offset:         48
        .size:           8
        .value_kind:     by_value
      - .actual_access:  read_only
        .address_space:  global
        .offset:         56
        .size:           8
        .value_kind:     global_buffer
      - .offset:         64
        .size:           4
        .value_kind:     by_value
      - .offset:         68
        .size:           4
        .value_kind:     by_value
      - .offset:         72
        .size:           4
        .value_kind:     by_value
      - .offset:         80
        .size:           4
        .value_kind:     hidden_block_count_x
      - .offset:         84
        .size:           4
        .value_kind:     hidden_block_count_y
      - .offset:         88
        .size:           4
        .value_kind:     hidden_block_count_z
      - .offset:         92
        .size:           2
        .value_kind:     hidden_group_size_x
      - .offset:         94
        .size:           2
        .value_kind:     hidden_group_size_y
      - .offset:         96
        .size:           2
        .value_kind:     hidden_group_size_z
      - .offset:         98
        .size:           2
        .value_kind:     hidden_remainder_x
      - .offset:         100
        .size:           2
        .value_kind:     hidden_remainder_y
      - .offset:         102
        .size:           2
        .value_kind:     hidden_remainder_z
      - .offset:         120
        .size:           8
        .value_kind:     hidden_global_offset_x
      - .offset:         128
        .size:           8
        .value_kind:     hidden_global_offset_y
      - .offset:         136
        .size:           8
        .value_kind:     hidden_global_offset_z
      - .offset:         144
        .size:           2
        .value_kind:     hidden_grid_dims
    .group_segment_fixed_size: 132
    .kernarg_segment_align: 8
    .kernarg_segment_size: 336
    .language:       OpenCL C
    .language_version:
      - 2
      - 0
    .max_flat_workgroup_size: 1024
    .name:           _ZN4vllm15rms_norm_kernelIfLi1ELi3EEEvPT_PKS1_lllllS4_fii
    .private_segment_fixed_size: 0
    .sgpr_count:     23
    .sgpr_spill_count: 0
    .symbol:         _ZN4vllm15rms_norm_kernelIfLi1ELi3EEEvPT_PKS1_lllllS4_fii.kd
    .uniform_work_group_size: 1
    .uses_dynamic_stack: false
    .vgpr_count:     15
    .vgpr_spill_count: 0
    .wavefront_size: 32
    .workgroup_processor_mode: 1
  - .args:
      - .actual_access:  write_only
        .address_space:  global
        .offset:         0
        .size:           8
        .value_kind:     global_buffer
      - .address_space:  global
        .offset:         8
        .size:           8
        .value_kind:     global_buffer
      - .offset:         16
        .size:           8
        .value_kind:     by_value
      - .offset:         24
        .size:           8
        .value_kind:     by_value
      - .offset:         32
        .size:           8
        .value_kind:     by_value
      - .offset:         40
        .size:           8
        .value_kind:     by_value
      - .offset:         48
        .size:           8
        .value_kind:     by_value
      - .actual_access:  read_only
        .address_space:  global
        .offset:         56
        .size:           8
        .value_kind:     global_buffer
      - .offset:         64
        .size:           4
        .value_kind:     by_value
      - .offset:         68
        .size:           4
        .value_kind:     by_value
      - .offset:         72
        .size:           4
        .value_kind:     by_value
      - .offset:         80
        .size:           4
        .value_kind:     hidden_block_count_x
      - .offset:         84
        .size:           4
        .value_kind:     hidden_block_count_y
      - .offset:         88
        .size:           4
        .value_kind:     hidden_block_count_z
      - .offset:         92
        .size:           2
        .value_kind:     hidden_group_size_x
      - .offset:         94
        .size:           2
        .value_kind:     hidden_group_size_y
      - .offset:         96
        .size:           2
        .value_kind:     hidden_group_size_z
      - .offset:         98
        .size:           2
        .value_kind:     hidden_remainder_x
      - .offset:         100
        .size:           2
        .value_kind:     hidden_remainder_y
      - .offset:         102
        .size:           2
        .value_kind:     hidden_remainder_z
      - .offset:         120
        .size:           8
        .value_kind:     hidden_global_offset_x
      - .offset:         128
        .size:           8
        .value_kind:     hidden_global_offset_y
      - .offset:         136
        .size:           8
        .value_kind:     hidden_global_offset_z
      - .offset:         144
        .size:           2
        .value_kind:     hidden_grid_dims
    .group_segment_fixed_size: 132
    .kernarg_segment_align: 8
    .kernarg_segment_size: 336
    .language:       OpenCL C
    .language_version:
      - 2
      - 0
    .max_flat_workgroup_size: 1024
    .name:           _ZN4vllm15rms_norm_kernelIN3c104HalfELi16ELi3EEEvPT_PKS3_lllllS6_fii
    .private_segment_fixed_size: 0
    .sgpr_count:     24
    .sgpr_spill_count: 0
    .symbol:         _ZN4vllm15rms_norm_kernelIN3c104HalfELi16ELi3EEEvPT_PKS3_lllllS6_fii.kd
    .uniform_work_group_size: 1
    .uses_dynamic_stack: false
    .vgpr_count:     29
    .vgpr_spill_count: 0
    .wavefront_size: 32
    .workgroup_processor_mode: 1
  - .args:
      - .actual_access:  write_only
        .address_space:  global
        .offset:         0
        .size:           8
        .value_kind:     global_buffer
      - .address_space:  global
        .offset:         8
        .size:           8
        .value_kind:     global_buffer
      - .offset:         16
        .size:           8
        .value_kind:     by_value
      - .offset:         24
        .size:           8
        .value_kind:     by_value
      - .offset:         32
        .size:           8
        .value_kind:     by_value
      - .offset:         40
        .size:           8
        .value_kind:     by_value
      - .offset:         48
        .size:           8
        .value_kind:     by_value
      - .actual_access:  read_only
        .address_space:  global
        .offset:         56
        .size:           8
        .value_kind:     global_buffer
      - .offset:         64
        .size:           4
        .value_kind:     by_value
      - .offset:         68
        .size:           4
        .value_kind:     by_value
      - .offset:         72
        .size:           4
        .value_kind:     by_value
      - .offset:         80
        .size:           4
        .value_kind:     hidden_block_count_x
      - .offset:         84
        .size:           4
        .value_kind:     hidden_block_count_y
      - .offset:         88
        .size:           4
        .value_kind:     hidden_block_count_z
      - .offset:         92
        .size:           2
        .value_kind:     hidden_group_size_x
      - .offset:         94
        .size:           2
        .value_kind:     hidden_group_size_y
      - .offset:         96
        .size:           2
        .value_kind:     hidden_group_size_z
      - .offset:         98
        .size:           2
        .value_kind:     hidden_remainder_x
      - .offset:         100
        .size:           2
        .value_kind:     hidden_remainder_y
      - .offset:         102
        .size:           2
        .value_kind:     hidden_remainder_z
      - .offset:         120
        .size:           8
        .value_kind:     hidden_global_offset_x
      - .offset:         128
        .size:           8
        .value_kind:     hidden_global_offset_y
      - .offset:         136
        .size:           8
        .value_kind:     hidden_global_offset_z
      - .offset:         144
        .size:           2
        .value_kind:     hidden_grid_dims
    .group_segment_fixed_size: 132
    .kernarg_segment_align: 8
    .kernarg_segment_size: 336
    .language:       OpenCL C
    .language_version:
      - 2
      - 0
    .max_flat_workgroup_size: 1024
    .name:           _ZN4vllm15rms_norm_kernelIN3c104HalfELi8ELi3EEEvPT_PKS3_lllllS6_fii
    .private_segment_fixed_size: 0
    .sgpr_count:     24
    .sgpr_spill_count: 0
    .symbol:         _ZN4vllm15rms_norm_kernelIN3c104HalfELi8ELi3EEEvPT_PKS3_lllllS6_fii.kd
    .uniform_work_group_size: 1
    .uses_dynamic_stack: false
    .vgpr_count:     17
    .vgpr_spill_count: 0
    .wavefront_size: 32
    .workgroup_processor_mode: 1
  - .args:
      - .actual_access:  write_only
        .address_space:  global
        .offset:         0
        .size:           8
        .value_kind:     global_buffer
      - .address_space:  global
        .offset:         8
        .size:           8
        .value_kind:     global_buffer
      - .offset:         16
        .size:           8
        .value_kind:     by_value
      - .offset:         24
        .size:           8
        .value_kind:     by_value
      - .offset:         32
        .size:           8
        .value_kind:     by_value
      - .offset:         40
        .size:           8
        .value_kind:     by_value
      - .offset:         48
        .size:           8
        .value_kind:     by_value
      - .actual_access:  read_only
        .address_space:  global
        .offset:         56
        .size:           8
        .value_kind:     global_buffer
      - .offset:         64
        .size:           4
        .value_kind:     by_value
      - .offset:         68
        .size:           4
        .value_kind:     by_value
      - .offset:         72
        .size:           4
        .value_kind:     by_value
      - .offset:         80
        .size:           4
        .value_kind:     hidden_block_count_x
      - .offset:         84
        .size:           4
        .value_kind:     hidden_block_count_y
      - .offset:         88
        .size:           4
        .value_kind:     hidden_block_count_z
      - .offset:         92
        .size:           2
        .value_kind:     hidden_group_size_x
      - .offset:         94
        .size:           2
        .value_kind:     hidden_group_size_y
      - .offset:         96
        .size:           2
        .value_kind:     hidden_group_size_z
      - .offset:         98
        .size:           2
        .value_kind:     hidden_remainder_x
      - .offset:         100
        .size:           2
        .value_kind:     hidden_remainder_y
      - .offset:         102
        .size:           2
        .value_kind:     hidden_remainder_z
      - .offset:         120
        .size:           8
        .value_kind:     hidden_global_offset_x
      - .offset:         128
        .size:           8
        .value_kind:     hidden_global_offset_y
      - .offset:         136
        .size:           8
        .value_kind:     hidden_global_offset_z
      - .offset:         144
        .size:           2
        .value_kind:     hidden_grid_dims
    .group_segment_fixed_size: 132
    .kernarg_segment_align: 8
    .kernarg_segment_size: 336
    .language:       OpenCL C
    .language_version:
      - 2
      - 0
    .max_flat_workgroup_size: 1024
    .name:           _ZN4vllm15rms_norm_kernelIN3c104HalfELi4ELi3EEEvPT_PKS3_lllllS6_fii
    .private_segment_fixed_size: 0
    .sgpr_count:     23
    .sgpr_spill_count: 0
    .symbol:         _ZN4vllm15rms_norm_kernelIN3c104HalfELi4ELi3EEEvPT_PKS3_lllllS6_fii.kd
    .uniform_work_group_size: 1
    .uses_dynamic_stack: false
    .vgpr_count:     16
    .vgpr_spill_count: 0
    .wavefront_size: 32
    .workgroup_processor_mode: 1
  - .args:
      - .actual_access:  write_only
        .address_space:  global
        .offset:         0
        .size:           8
        .value_kind:     global_buffer
      - .address_space:  global
        .offset:         8
        .size:           8
        .value_kind:     global_buffer
      - .offset:         16
        .size:           8
        .value_kind:     by_value
      - .offset:         24
        .size:           8
        .value_kind:     by_value
      - .offset:         32
        .size:           8
        .value_kind:     by_value
      - .offset:         40
        .size:           8
        .value_kind:     by_value
      - .offset:         48
        .size:           8
        .value_kind:     by_value
      - .actual_access:  read_only
        .address_space:  global
        .offset:         56
        .size:           8
        .value_kind:     global_buffer
      - .offset:         64
        .size:           4
        .value_kind:     by_value
      - .offset:         68
        .size:           4
        .value_kind:     by_value
      - .offset:         72
        .size:           4
        .value_kind:     by_value
      - .offset:         80
        .size:           4
        .value_kind:     hidden_block_count_x
      - .offset:         84
        .size:           4
        .value_kind:     hidden_block_count_y
      - .offset:         88
        .size:           4
        .value_kind:     hidden_block_count_z
      - .offset:         92
        .size:           2
        .value_kind:     hidden_group_size_x
      - .offset:         94
        .size:           2
        .value_kind:     hidden_group_size_y
      - .offset:         96
        .size:           2
        .value_kind:     hidden_group_size_z
      - .offset:         98
        .size:           2
        .value_kind:     hidden_remainder_x
      - .offset:         100
        .size:           2
        .value_kind:     hidden_remainder_y
      - .offset:         102
        .size:           2
        .value_kind:     hidden_remainder_z
      - .offset:         120
        .size:           8
        .value_kind:     hidden_global_offset_x
      - .offset:         128
        .size:           8
        .value_kind:     hidden_global_offset_y
      - .offset:         136
        .size:           8
        .value_kind:     hidden_global_offset_z
      - .offset:         144
        .size:           2
        .value_kind:     hidden_grid_dims
    .group_segment_fixed_size: 132
    .kernarg_segment_align: 8
    .kernarg_segment_size: 336
    .language:       OpenCL C
    .language_version:
      - 2
      - 0
    .max_flat_workgroup_size: 1024
    .name:           _ZN4vllm15rms_norm_kernelIN3c104HalfELi2ELi3EEEvPT_PKS3_lllllS6_fii
    .private_segment_fixed_size: 0
    .sgpr_count:     26
    .sgpr_spill_count: 0
    .symbol:         _ZN4vllm15rms_norm_kernelIN3c104HalfELi2ELi3EEEvPT_PKS3_lllllS6_fii.kd
    .uniform_work_group_size: 1
    .uses_dynamic_stack: false
    .vgpr_count:     21
    .vgpr_spill_count: 0
    .wavefront_size: 32
    .workgroup_processor_mode: 1
  - .args:
      - .actual_access:  write_only
        .address_space:  global
        .offset:         0
        .size:           8
        .value_kind:     global_buffer
      - .address_space:  global
        .offset:         8
        .size:           8
        .value_kind:     global_buffer
      - .offset:         16
        .size:           8
        .value_kind:     by_value
      - .offset:         24
        .size:           8
        .value_kind:     by_value
      - .offset:         32
        .size:           8
        .value_kind:     by_value
      - .offset:         40
        .size:           8
        .value_kind:     by_value
      - .offset:         48
        .size:           8
        .value_kind:     by_value
      - .actual_access:  read_only
        .address_space:  global
        .offset:         56
        .size:           8
        .value_kind:     global_buffer
      - .offset:         64
        .size:           4
        .value_kind:     by_value
      - .offset:         68
        .size:           4
        .value_kind:     by_value
      - .offset:         72
        .size:           4
        .value_kind:     by_value
      - .offset:         80
        .size:           4
        .value_kind:     hidden_block_count_x
      - .offset:         84
        .size:           4
        .value_kind:     hidden_block_count_y
      - .offset:         88
        .size:           4
        .value_kind:     hidden_block_count_z
      - .offset:         92
        .size:           2
        .value_kind:     hidden_group_size_x
      - .offset:         94
        .size:           2
        .value_kind:     hidden_group_size_y
      - .offset:         96
        .size:           2
        .value_kind:     hidden_group_size_z
      - .offset:         98
        .size:           2
        .value_kind:     hidden_remainder_x
      - .offset:         100
        .size:           2
        .value_kind:     hidden_remainder_y
      - .offset:         102
        .size:           2
        .value_kind:     hidden_remainder_z
      - .offset:         120
        .size:           8
        .value_kind:     hidden_global_offset_x
      - .offset:         128
        .size:           8
        .value_kind:     hidden_global_offset_y
      - .offset:         136
        .size:           8
        .value_kind:     hidden_global_offset_z
      - .offset:         144
        .size:           2
        .value_kind:     hidden_grid_dims
    .group_segment_fixed_size: 132
    .kernarg_segment_align: 8
    .kernarg_segment_size: 336
    .language:       OpenCL C
    .language_version:
      - 2
      - 0
    .max_flat_workgroup_size: 1024
    .name:           _ZN4vllm15rms_norm_kernelIN3c104HalfELi1ELi3EEEvPT_PKS3_lllllS6_fii
    .private_segment_fixed_size: 0
    .sgpr_count:     23
    .sgpr_spill_count: 0
    .symbol:         _ZN4vllm15rms_norm_kernelIN3c104HalfELi1ELi3EEEvPT_PKS3_lllllS6_fii.kd
    .uniform_work_group_size: 1
    .uses_dynamic_stack: false
    .vgpr_count:     15
    .vgpr_spill_count: 0
    .wavefront_size: 32
    .workgroup_processor_mode: 1
  - .args:
      - .actual_access:  write_only
        .address_space:  global
        .offset:         0
        .size:           8
        .value_kind:     global_buffer
      - .address_space:  global
        .offset:         8
        .size:           8
        .value_kind:     global_buffer
      - .offset:         16
        .size:           8
        .value_kind:     by_value
      - .offset:         24
        .size:           8
        .value_kind:     by_value
      - .offset:         32
        .size:           8
        .value_kind:     by_value
      - .offset:         40
        .size:           8
        .value_kind:     by_value
      - .offset:         48
        .size:           8
        .value_kind:     by_value
      - .actual_access:  read_only
        .address_space:  global
        .offset:         56
        .size:           8
        .value_kind:     global_buffer
      - .offset:         64
        .size:           4
        .value_kind:     by_value
      - .offset:         68
        .size:           4
        .value_kind:     by_value
      - .offset:         72
        .size:           4
        .value_kind:     by_value
      - .offset:         80
        .size:           4
        .value_kind:     hidden_block_count_x
      - .offset:         84
        .size:           4
        .value_kind:     hidden_block_count_y
      - .offset:         88
        .size:           4
        .value_kind:     hidden_block_count_z
      - .offset:         92
        .size:           2
        .value_kind:     hidden_group_size_x
      - .offset:         94
        .size:           2
        .value_kind:     hidden_group_size_y
      - .offset:         96
        .size:           2
        .value_kind:     hidden_group_size_z
      - .offset:         98
        .size:           2
        .value_kind:     hidden_remainder_x
      - .offset:         100
        .size:           2
        .value_kind:     hidden_remainder_y
      - .offset:         102
        .size:           2
        .value_kind:     hidden_remainder_z
      - .offset:         120
        .size:           8
        .value_kind:     hidden_global_offset_x
      - .offset:         128
        .size:           8
        .value_kind:     hidden_global_offset_y
      - .offset:         136
        .size:           8
        .value_kind:     hidden_global_offset_z
      - .offset:         144
        .size:           2
        .value_kind:     hidden_grid_dims
    .group_segment_fixed_size: 132
    .kernarg_segment_align: 8
    .kernarg_segment_size: 336
    .language:       OpenCL C
    .language_version:
      - 2
      - 0
    .max_flat_workgroup_size: 1024
    .name:           _ZN4vllm15rms_norm_kernelIN3c108BFloat16ELi16ELi3EEEvPT_PKS3_lllllS6_fii
    .private_segment_fixed_size: 0
    .sgpr_count:     29
    .sgpr_spill_count: 0
    .symbol:         _ZN4vllm15rms_norm_kernelIN3c108BFloat16ELi16ELi3EEEvPT_PKS3_lllllS6_fii.kd
    .uniform_work_group_size: 1
    .uses_dynamic_stack: false
    .vgpr_count:     94
    .vgpr_spill_count: 0
    .wavefront_size: 32
    .workgroup_processor_mode: 1
  - .args:
      - .actual_access:  write_only
        .address_space:  global
        .offset:         0
        .size:           8
        .value_kind:     global_buffer
      - .address_space:  global
        .offset:         8
        .size:           8
        .value_kind:     global_buffer
      - .offset:         16
        .size:           8
        .value_kind:     by_value
      - .offset:         24
        .size:           8
        .value_kind:     by_value
      - .offset:         32
        .size:           8
        .value_kind:     by_value
      - .offset:         40
        .size:           8
        .value_kind:     by_value
      - .offset:         48
        .size:           8
        .value_kind:     by_value
      - .actual_access:  read_only
        .address_space:  global
        .offset:         56
        .size:           8
        .value_kind:     global_buffer
      - .offset:         64
        .size:           4
        .value_kind:     by_value
      - .offset:         68
        .size:           4
        .value_kind:     by_value
      - .offset:         72
        .size:           4
        .value_kind:     by_value
      - .offset:         80
        .size:           4
        .value_kind:     hidden_block_count_x
      - .offset:         84
        .size:           4
        .value_kind:     hidden_block_count_y
      - .offset:         88
        .size:           4
        .value_kind:     hidden_block_count_z
      - .offset:         92
        .size:           2
        .value_kind:     hidden_group_size_x
      - .offset:         94
        .size:           2
        .value_kind:     hidden_group_size_y
      - .offset:         96
        .size:           2
        .value_kind:     hidden_group_size_z
      - .offset:         98
        .size:           2
        .value_kind:     hidden_remainder_x
      - .offset:         100
        .size:           2
        .value_kind:     hidden_remainder_y
      - .offset:         102
        .size:           2
        .value_kind:     hidden_remainder_z
      - .offset:         120
        .size:           8
        .value_kind:     hidden_global_offset_x
      - .offset:         128
        .size:           8
        .value_kind:     hidden_global_offset_y
      - .offset:         136
        .size:           8
        .value_kind:     hidden_global_offset_z
      - .offset:         144
        .size:           2
        .value_kind:     hidden_grid_dims
    .group_segment_fixed_size: 132
    .kernarg_segment_align: 8
    .kernarg_segment_size: 336
    .language:       OpenCL C
    .language_version:
      - 2
      - 0
    .max_flat_workgroup_size: 1024
    .name:           _ZN4vllm15rms_norm_kernelIN3c108BFloat16ELi8ELi3EEEvPT_PKS3_lllllS6_fii
    .private_segment_fixed_size: 0
    .sgpr_count:     24
    .sgpr_spill_count: 0
    .symbol:         _ZN4vllm15rms_norm_kernelIN3c108BFloat16ELi8ELi3EEEvPT_PKS3_lllllS6_fii.kd
    .uniform_work_group_size: 1
    .uses_dynamic_stack: false
    .vgpr_count:     60
    .vgpr_spill_count: 0
    .wavefront_size: 32
    .workgroup_processor_mode: 1
  - .args:
      - .actual_access:  write_only
        .address_space:  global
        .offset:         0
        .size:           8
        .value_kind:     global_buffer
      - .address_space:  global
        .offset:         8
        .size:           8
        .value_kind:     global_buffer
      - .offset:         16
        .size:           8
        .value_kind:     by_value
      - .offset:         24
        .size:           8
        .value_kind:     by_value
      - .offset:         32
        .size:           8
        .value_kind:     by_value
      - .offset:         40
        .size:           8
        .value_kind:     by_value
      - .offset:         48
        .size:           8
        .value_kind:     by_value
      - .actual_access:  read_only
        .address_space:  global
        .offset:         56
        .size:           8
        .value_kind:     global_buffer
      - .offset:         64
        .size:           4
        .value_kind:     by_value
      - .offset:         68
        .size:           4
        .value_kind:     by_value
      - .offset:         72
        .size:           4
        .value_kind:     by_value
      - .offset:         80
        .size:           4
        .value_kind:     hidden_block_count_x
      - .offset:         84
        .size:           4
        .value_kind:     hidden_block_count_y
      - .offset:         88
        .size:           4
        .value_kind:     hidden_block_count_z
      - .offset:         92
        .size:           2
        .value_kind:     hidden_group_size_x
      - .offset:         94
        .size:           2
        .value_kind:     hidden_group_size_y
      - .offset:         96
        .size:           2
        .value_kind:     hidden_group_size_z
      - .offset:         98
        .size:           2
        .value_kind:     hidden_remainder_x
      - .offset:         100
        .size:           2
        .value_kind:     hidden_remainder_y
      - .offset:         102
        .size:           2
        .value_kind:     hidden_remainder_z
      - .offset:         120
        .size:           8
        .value_kind:     hidden_global_offset_x
      - .offset:         128
        .size:           8
        .value_kind:     hidden_global_offset_y
      - .offset:         136
        .size:           8
        .value_kind:     hidden_global_offset_z
      - .offset:         144
        .size:           2
        .value_kind:     hidden_grid_dims
    .group_segment_fixed_size: 132
    .kernarg_segment_align: 8
    .kernarg_segment_size: 336
    .language:       OpenCL C
    .language_version:
      - 2
      - 0
    .max_flat_workgroup_size: 1024
    .name:           _ZN4vllm15rms_norm_kernelIN3c108BFloat16ELi4ELi3EEEvPT_PKS3_lllllS6_fii
    .private_segment_fixed_size: 0
    .sgpr_count:     26
    .sgpr_spill_count: 0
    .symbol:         _ZN4vllm15rms_norm_kernelIN3c108BFloat16ELi4ELi3EEEvPT_PKS3_lllllS6_fii.kd
    .uniform_work_group_size: 1
    .uses_dynamic_stack: false
    .vgpr_count:     18
    .vgpr_spill_count: 0
    .wavefront_size: 32
    .workgroup_processor_mode: 1
  - .args:
      - .actual_access:  write_only
        .address_space:  global
        .offset:         0
        .size:           8
        .value_kind:     global_buffer
      - .address_space:  global
        .offset:         8
        .size:           8
        .value_kind:     global_buffer
      - .offset:         16
        .size:           8
        .value_kind:     by_value
      - .offset:         24
        .size:           8
        .value_kind:     by_value
      - .offset:         32
        .size:           8
        .value_kind:     by_value
      - .offset:         40
        .size:           8
        .value_kind:     by_value
      - .offset:         48
        .size:           8
        .value_kind:     by_value
      - .actual_access:  read_only
        .address_space:  global
        .offset:         56
        .size:           8
        .value_kind:     global_buffer
      - .offset:         64
        .size:           4
        .value_kind:     by_value
      - .offset:         68
        .size:           4
        .value_kind:     by_value
      - .offset:         72
        .size:           4
        .value_kind:     by_value
      - .offset:         80
        .size:           4
        .value_kind:     hidden_block_count_x
      - .offset:         84
        .size:           4
        .value_kind:     hidden_block_count_y
      - .offset:         88
        .size:           4
        .value_kind:     hidden_block_count_z
      - .offset:         92
        .size:           2
        .value_kind:     hidden_group_size_x
      - .offset:         94
        .size:           2
        .value_kind:     hidden_group_size_y
      - .offset:         96
        .size:           2
        .value_kind:     hidden_group_size_z
      - .offset:         98
        .size:           2
        .value_kind:     hidden_remainder_x
      - .offset:         100
        .size:           2
        .value_kind:     hidden_remainder_y
      - .offset:         102
        .size:           2
        .value_kind:     hidden_remainder_z
      - .offset:         120
        .size:           8
        .value_kind:     hidden_global_offset_x
      - .offset:         128
        .size:           8
        .value_kind:     hidden_global_offset_y
      - .offset:         136
        .size:           8
        .value_kind:     hidden_global_offset_z
      - .offset:         144
        .size:           2
        .value_kind:     hidden_grid_dims
    .group_segment_fixed_size: 132
    .kernarg_segment_align: 8
    .kernarg_segment_size: 336
    .language:       OpenCL C
    .language_version:
      - 2
      - 0
    .max_flat_workgroup_size: 1024
    .name:           _ZN4vllm15rms_norm_kernelIN3c108BFloat16ELi2ELi3EEEvPT_PKS3_lllllS6_fii
    .private_segment_fixed_size: 0
    .sgpr_count:     26
    .sgpr_spill_count: 0
    .symbol:         _ZN4vllm15rms_norm_kernelIN3c108BFloat16ELi2ELi3EEEvPT_PKS3_lllllS6_fii.kd
    .uniform_work_group_size: 1
    .uses_dynamic_stack: false
    .vgpr_count:     15
    .vgpr_spill_count: 0
    .wavefront_size: 32
    .workgroup_processor_mode: 1
  - .args:
      - .actual_access:  write_only
        .address_space:  global
        .offset:         0
        .size:           8
        .value_kind:     global_buffer
      - .address_space:  global
        .offset:         8
        .size:           8
        .value_kind:     global_buffer
      - .offset:         16
        .size:           8
        .value_kind:     by_value
      - .offset:         24
        .size:           8
        .value_kind:     by_value
      - .offset:         32
        .size:           8
        .value_kind:     by_value
      - .offset:         40
        .size:           8
        .value_kind:     by_value
      - .offset:         48
        .size:           8
        .value_kind:     by_value
      - .actual_access:  read_only
        .address_space:  global
        .offset:         56
        .size:           8
        .value_kind:     global_buffer
      - .offset:         64
        .size:           4
        .value_kind:     by_value
      - .offset:         68
        .size:           4
        .value_kind:     by_value
      - .offset:         72
        .size:           4
        .value_kind:     by_value
      - .offset:         80
        .size:           4
        .value_kind:     hidden_block_count_x
      - .offset:         84
        .size:           4
        .value_kind:     hidden_block_count_y
      - .offset:         88
        .size:           4
        .value_kind:     hidden_block_count_z
      - .offset:         92
        .size:           2
        .value_kind:     hidden_group_size_x
      - .offset:         94
        .size:           2
        .value_kind:     hidden_group_size_y
      - .offset:         96
        .size:           2
        .value_kind:     hidden_group_size_z
      - .offset:         98
        .size:           2
        .value_kind:     hidden_remainder_x
      - .offset:         100
        .size:           2
        .value_kind:     hidden_remainder_y
      - .offset:         102
        .size:           2
        .value_kind:     hidden_remainder_z
      - .offset:         120
        .size:           8
        .value_kind:     hidden_global_offset_x
      - .offset:         128
        .size:           8
        .value_kind:     hidden_global_offset_y
      - .offset:         136
        .size:           8
        .value_kind:     hidden_global_offset_z
      - .offset:         144
        .size:           2
        .value_kind:     hidden_grid_dims
    .group_segment_fixed_size: 132
    .kernarg_segment_align: 8
    .kernarg_segment_size: 336
    .language:       OpenCL C
    .language_version:
      - 2
      - 0
    .max_flat_workgroup_size: 1024
    .name:           _ZN4vllm15rms_norm_kernelIN3c108BFloat16ELi1ELi3EEEvPT_PKS3_lllllS6_fii
    .private_segment_fixed_size: 0
    .sgpr_count:     23
    .sgpr_spill_count: 0
    .symbol:         _ZN4vllm15rms_norm_kernelIN3c108BFloat16ELi1ELi3EEEvPT_PKS3_lllllS6_fii.kd
    .uniform_work_group_size: 1
    .uses_dynamic_stack: false
    .vgpr_count:     15
    .vgpr_spill_count: 0
    .wavefront_size: 32
    .workgroup_processor_mode: 1
  - .args:
      - .actual_access:  write_only
        .address_space:  global
        .offset:         0
        .size:           8
        .value_kind:     global_buffer
      - .address_space:  global
        .offset:         8
        .size:           8
        .value_kind:     global_buffer
      - .offset:         16
        .size:           8
        .value_kind:     by_value
      - .offset:         24
        .size:           8
        .value_kind:     by_value
      - .offset:         32
        .size:           8
        .value_kind:     by_value
      - .offset:         40
        .size:           8
        .value_kind:     by_value
      - .offset:         48
        .size:           8
        .value_kind:     by_value
      - .actual_access:  read_only
        .address_space:  global
        .offset:         56
        .size:           8
        .value_kind:     global_buffer
      - .offset:         64
        .size:           4
        .value_kind:     by_value
      - .offset:         68
        .size:           4
        .value_kind:     by_value
      - .offset:         72
        .size:           4
        .value_kind:     by_value
      - .offset:         80
        .size:           4
        .value_kind:     hidden_block_count_x
      - .offset:         84
        .size:           4
        .value_kind:     hidden_block_count_y
      - .offset:         88
        .size:           4
        .value_kind:     hidden_block_count_z
      - .offset:         92
        .size:           2
        .value_kind:     hidden_group_size_x
      - .offset:         94
        .size:           2
        .value_kind:     hidden_group_size_y
      - .offset:         96
        .size:           2
        .value_kind:     hidden_group_size_z
      - .offset:         98
        .size:           2
        .value_kind:     hidden_remainder_x
      - .offset:         100
        .size:           2
        .value_kind:     hidden_remainder_y
      - .offset:         102
        .size:           2
        .value_kind:     hidden_remainder_z
      - .offset:         120
        .size:           8
        .value_kind:     hidden_global_offset_x
      - .offset:         128
        .size:           8
        .value_kind:     hidden_global_offset_y
      - .offset:         136
        .size:           8
        .value_kind:     hidden_global_offset_z
      - .offset:         144
        .size:           2
        .value_kind:     hidden_grid_dims
    .group_segment_fixed_size: 132
    .kernarg_segment_align: 8
    .kernarg_segment_size: 336
    .language:       OpenCL C
    .language_version:
      - 2
      - 0
    .max_flat_workgroup_size: 1024
    .name:           _ZN4vllm15rms_norm_kernelIfLi16ELi4EEEvPT_PKS1_lllllS4_fii
    .private_segment_fixed_size: 0
    .sgpr_count:     37
    .sgpr_spill_count: 0
    .symbol:         _ZN4vllm15rms_norm_kernelIfLi16ELi4EEEvPT_PKS1_lllllS4_fii.kd
    .uniform_work_group_size: 1
    .uses_dynamic_stack: false
    .vgpr_count:     37
    .vgpr_spill_count: 0
    .wavefront_size: 32
    .workgroup_processor_mode: 1
  - .args:
      - .actual_access:  write_only
        .address_space:  global
        .offset:         0
        .size:           8
        .value_kind:     global_buffer
      - .address_space:  global
        .offset:         8
        .size:           8
        .value_kind:     global_buffer
      - .offset:         16
        .size:           8
        .value_kind:     by_value
      - .offset:         24
        .size:           8
        .value_kind:     by_value
      - .offset:         32
        .size:           8
        .value_kind:     by_value
      - .offset:         40
        .size:           8
        .value_kind:     by_value
      - .offset:         48
        .size:           8
        .value_kind:     by_value
      - .actual_access:  read_only
        .address_space:  global
        .offset:         56
        .size:           8
        .value_kind:     global_buffer
      - .offset:         64
        .size:           4
        .value_kind:     by_value
      - .offset:         68
        .size:           4
        .value_kind:     by_value
      - .offset:         72
        .size:           4
        .value_kind:     by_value
      - .offset:         80
        .size:           4
        .value_kind:     hidden_block_count_x
      - .offset:         84
        .size:           4
        .value_kind:     hidden_block_count_y
      - .offset:         88
        .size:           4
        .value_kind:     hidden_block_count_z
      - .offset:         92
        .size:           2
        .value_kind:     hidden_group_size_x
      - .offset:         94
        .size:           2
        .value_kind:     hidden_group_size_y
      - .offset:         96
        .size:           2
        .value_kind:     hidden_group_size_z
      - .offset:         98
        .size:           2
        .value_kind:     hidden_remainder_x
      - .offset:         100
        .size:           2
        .value_kind:     hidden_remainder_y
      - .offset:         102
        .size:           2
        .value_kind:     hidden_remainder_z
      - .offset:         120
        .size:           8
        .value_kind:     hidden_global_offset_x
      - .offset:         128
        .size:           8
        .value_kind:     hidden_global_offset_y
      - .offset:         136
        .size:           8
        .value_kind:     hidden_global_offset_z
      - .offset:         144
        .size:           2
        .value_kind:     hidden_grid_dims
    .group_segment_fixed_size: 132
    .kernarg_segment_align: 8
    .kernarg_segment_size: 336
    .language:       OpenCL C
    .language_version:
      - 2
      - 0
    .max_flat_workgroup_size: 1024
    .name:           _ZN4vllm15rms_norm_kernelIfLi8ELi4EEEvPT_PKS1_lllllS4_fii
    .private_segment_fixed_size: 0
    .sgpr_count:     37
    .sgpr_spill_count: 0
    .symbol:         _ZN4vllm15rms_norm_kernelIfLi8ELi4EEEvPT_PKS1_lllllS4_fii.kd
    .uniform_work_group_size: 1
    .uses_dynamic_stack: false
    .vgpr_count:     21
    .vgpr_spill_count: 0
    .wavefront_size: 32
    .workgroup_processor_mode: 1
  - .args:
      - .actual_access:  write_only
        .address_space:  global
        .offset:         0
        .size:           8
        .value_kind:     global_buffer
      - .address_space:  global
        .offset:         8
        .size:           8
        .value_kind:     global_buffer
      - .offset:         16
        .size:           8
        .value_kind:     by_value
      - .offset:         24
        .size:           8
        .value_kind:     by_value
      - .offset:         32
        .size:           8
        .value_kind:     by_value
      - .offset:         40
        .size:           8
        .value_kind:     by_value
      - .offset:         48
        .size:           8
        .value_kind:     by_value
      - .actual_access:  read_only
        .address_space:  global
        .offset:         56
        .size:           8
        .value_kind:     global_buffer
      - .offset:         64
        .size:           4
        .value_kind:     by_value
      - .offset:         68
        .size:           4
        .value_kind:     by_value
      - .offset:         72
        .size:           4
        .value_kind:     by_value
      - .offset:         80
        .size:           4
        .value_kind:     hidden_block_count_x
      - .offset:         84
        .size:           4
        .value_kind:     hidden_block_count_y
      - .offset:         88
        .size:           4
        .value_kind:     hidden_block_count_z
      - .offset:         92
        .size:           2
        .value_kind:     hidden_group_size_x
      - .offset:         94
        .size:           2
        .value_kind:     hidden_group_size_y
      - .offset:         96
        .size:           2
        .value_kind:     hidden_group_size_z
      - .offset:         98
        .size:           2
        .value_kind:     hidden_remainder_x
      - .offset:         100
        .size:           2
        .value_kind:     hidden_remainder_y
      - .offset:         102
        .size:           2
        .value_kind:     hidden_remainder_z
      - .offset:         120
        .size:           8
        .value_kind:     hidden_global_offset_x
      - .offset:         128
        .size:           8
        .value_kind:     hidden_global_offset_y
      - .offset:         136
        .size:           8
        .value_kind:     hidden_global_offset_z
      - .offset:         144
        .size:           2
        .value_kind:     hidden_grid_dims
    .group_segment_fixed_size: 132
    .kernarg_segment_align: 8
    .kernarg_segment_size: 336
    .language:       OpenCL C
    .language_version:
      - 2
      - 0
    .max_flat_workgroup_size: 1024
    .name:           _ZN4vllm15rms_norm_kernelIfLi4ELi4EEEvPT_PKS1_lllllS4_fii
    .private_segment_fixed_size: 0
    .sgpr_count:     37
    .sgpr_spill_count: 0
    .symbol:         _ZN4vllm15rms_norm_kernelIfLi4ELi4EEEvPT_PKS1_lllllS4_fii.kd
    .uniform_work_group_size: 1
    .uses_dynamic_stack: false
    .vgpr_count:     15
    .vgpr_spill_count: 0
    .wavefront_size: 32
    .workgroup_processor_mode: 1
  - .args:
      - .actual_access:  write_only
        .address_space:  global
        .offset:         0
        .size:           8
        .value_kind:     global_buffer
      - .address_space:  global
        .offset:         8
        .size:           8
        .value_kind:     global_buffer
      - .offset:         16
        .size:           8
        .value_kind:     by_value
      - .offset:         24
        .size:           8
        .value_kind:     by_value
      - .offset:         32
        .size:           8
        .value_kind:     by_value
      - .offset:         40
        .size:           8
        .value_kind:     by_value
      - .offset:         48
        .size:           8
        .value_kind:     by_value
      - .actual_access:  read_only
        .address_space:  global
        .offset:         56
        .size:           8
        .value_kind:     global_buffer
      - .offset:         64
        .size:           4
        .value_kind:     by_value
      - .offset:         68
        .size:           4
        .value_kind:     by_value
      - .offset:         72
        .size:           4
        .value_kind:     by_value
      - .offset:         80
        .size:           4
        .value_kind:     hidden_block_count_x
      - .offset:         84
        .size:           4
        .value_kind:     hidden_block_count_y
      - .offset:         88
        .size:           4
        .value_kind:     hidden_block_count_z
      - .offset:         92
        .size:           2
        .value_kind:     hidden_group_size_x
      - .offset:         94
        .size:           2
        .value_kind:     hidden_group_size_y
      - .offset:         96
        .size:           2
        .value_kind:     hidden_group_size_z
      - .offset:         98
        .size:           2
        .value_kind:     hidden_remainder_x
      - .offset:         100
        .size:           2
        .value_kind:     hidden_remainder_y
      - .offset:         102
        .size:           2
        .value_kind:     hidden_remainder_z
      - .offset:         120
        .size:           8
        .value_kind:     hidden_global_offset_x
      - .offset:         128
        .size:           8
        .value_kind:     hidden_global_offset_y
      - .offset:         136
        .size:           8
        .value_kind:     hidden_global_offset_z
      - .offset:         144
        .size:           2
        .value_kind:     hidden_grid_dims
    .group_segment_fixed_size: 132
    .kernarg_segment_align: 8
    .kernarg_segment_size: 336
    .language:       OpenCL C
    .language_version:
      - 2
      - 0
    .max_flat_workgroup_size: 1024
    .name:           _ZN4vllm15rms_norm_kernelIfLi2ELi4EEEvPT_PKS1_lllllS4_fii
    .private_segment_fixed_size: 0
    .sgpr_count:     37
    .sgpr_spill_count: 0
    .symbol:         _ZN4vllm15rms_norm_kernelIfLi2ELi4EEEvPT_PKS1_lllllS4_fii.kd
    .uniform_work_group_size: 1
    .uses_dynamic_stack: false
    .vgpr_count:     15
    .vgpr_spill_count: 0
    .wavefront_size: 32
    .workgroup_processor_mode: 1
  - .args:
      - .actual_access:  write_only
        .address_space:  global
        .offset:         0
        .size:           8
        .value_kind:     global_buffer
      - .address_space:  global
        .offset:         8
        .size:           8
        .value_kind:     global_buffer
      - .offset:         16
        .size:           8
        .value_kind:     by_value
      - .offset:         24
        .size:           8
        .value_kind:     by_value
      - .offset:         32
        .size:           8
        .value_kind:     by_value
      - .offset:         40
        .size:           8
        .value_kind:     by_value
      - .offset:         48
        .size:           8
        .value_kind:     by_value
      - .actual_access:  read_only
        .address_space:  global
        .offset:         56
        .size:           8
        .value_kind:     global_buffer
      - .offset:         64
        .size:           4
        .value_kind:     by_value
      - .offset:         68
        .size:           4
        .value_kind:     by_value
      - .offset:         72
        .size:           4
        .value_kind:     by_value
      - .offset:         80
        .size:           4
        .value_kind:     hidden_block_count_x
      - .offset:         84
        .size:           4
        .value_kind:     hidden_block_count_y
      - .offset:         88
        .size:           4
        .value_kind:     hidden_block_count_z
      - .offset:         92
        .size:           2
        .value_kind:     hidden_group_size_x
      - .offset:         94
        .size:           2
        .value_kind:     hidden_group_size_y
      - .offset:         96
        .size:           2
        .value_kind:     hidden_group_size_z
      - .offset:         98
        .size:           2
        .value_kind:     hidden_remainder_x
      - .offset:         100
        .size:           2
        .value_kind:     hidden_remainder_y
      - .offset:         102
        .size:           2
        .value_kind:     hidden_remainder_z
      - .offset:         120
        .size:           8
        .value_kind:     hidden_global_offset_x
      - .offset:         128
        .size:           8
        .value_kind:     hidden_global_offset_y
      - .offset:         136
        .size:           8
        .value_kind:     hidden_global_offset_z
      - .offset:         144
        .size:           2
        .value_kind:     hidden_grid_dims
    .group_segment_fixed_size: 132
    .kernarg_segment_align: 8
    .kernarg_segment_size: 336
    .language:       OpenCL C
    .language_version:
      - 2
      - 0
    .max_flat_workgroup_size: 1024
    .name:           _ZN4vllm15rms_norm_kernelIfLi1ELi4EEEvPT_PKS1_lllllS4_fii
    .private_segment_fixed_size: 0
    .sgpr_count:     37
    .sgpr_spill_count: 0
    .symbol:         _ZN4vllm15rms_norm_kernelIfLi1ELi4EEEvPT_PKS1_lllllS4_fii.kd
    .uniform_work_group_size: 1
    .uses_dynamic_stack: false
    .vgpr_count:     15
    .vgpr_spill_count: 0
    .wavefront_size: 32
    .workgroup_processor_mode: 1
  - .args:
      - .actual_access:  write_only
        .address_space:  global
        .offset:         0
        .size:           8
        .value_kind:     global_buffer
      - .address_space:  global
        .offset:         8
        .size:           8
        .value_kind:     global_buffer
      - .offset:         16
        .size:           8
        .value_kind:     by_value
      - .offset:         24
        .size:           8
        .value_kind:     by_value
      - .offset:         32
        .size:           8
        .value_kind:     by_value
      - .offset:         40
        .size:           8
        .value_kind:     by_value
      - .offset:         48
        .size:           8
        .value_kind:     by_value
      - .actual_access:  read_only
        .address_space:  global
        .offset:         56
        .size:           8
        .value_kind:     global_buffer
      - .offset:         64
        .size:           4
        .value_kind:     by_value
      - .offset:         68
        .size:           4
        .value_kind:     by_value
      - .offset:         72
        .size:           4
        .value_kind:     by_value
      - .offset:         80
        .size:           4
        .value_kind:     hidden_block_count_x
      - .offset:         84
        .size:           4
        .value_kind:     hidden_block_count_y
      - .offset:         88
        .size:           4
        .value_kind:     hidden_block_count_z
      - .offset:         92
        .size:           2
        .value_kind:     hidden_group_size_x
      - .offset:         94
        .size:           2
        .value_kind:     hidden_group_size_y
      - .offset:         96
        .size:           2
        .value_kind:     hidden_group_size_z
      - .offset:         98
        .size:           2
        .value_kind:     hidden_remainder_x
      - .offset:         100
        .size:           2
        .value_kind:     hidden_remainder_y
      - .offset:         102
        .size:           2
        .value_kind:     hidden_remainder_z
      - .offset:         120
        .size:           8
        .value_kind:     hidden_global_offset_x
      - .offset:         128
        .size:           8
        .value_kind:     hidden_global_offset_y
      - .offset:         136
        .size:           8
        .value_kind:     hidden_global_offset_z
      - .offset:         144
        .size:           2
        .value_kind:     hidden_grid_dims
    .group_segment_fixed_size: 132
    .kernarg_segment_align: 8
    .kernarg_segment_size: 336
    .language:       OpenCL C
    .language_version:
      - 2
      - 0
    .max_flat_workgroup_size: 1024
    .name:           _ZN4vllm15rms_norm_kernelIN3c104HalfELi16ELi4EEEvPT_PKS3_lllllS6_fii
    .private_segment_fixed_size: 0
    .sgpr_count:     37
    .sgpr_spill_count: 0
    .symbol:         _ZN4vllm15rms_norm_kernelIN3c104HalfELi16ELi4EEEvPT_PKS3_lllllS6_fii.kd
    .uniform_work_group_size: 1
    .uses_dynamic_stack: false
    .vgpr_count:     29
    .vgpr_spill_count: 0
    .wavefront_size: 32
    .workgroup_processor_mode: 1
  - .args:
      - .actual_access:  write_only
        .address_space:  global
        .offset:         0
        .size:           8
        .value_kind:     global_buffer
      - .address_space:  global
        .offset:         8
        .size:           8
        .value_kind:     global_buffer
      - .offset:         16
        .size:           8
        .value_kind:     by_value
      - .offset:         24
        .size:           8
        .value_kind:     by_value
      - .offset:         32
        .size:           8
        .value_kind:     by_value
      - .offset:         40
        .size:           8
        .value_kind:     by_value
      - .offset:         48
        .size:           8
        .value_kind:     by_value
      - .actual_access:  read_only
        .address_space:  global
        .offset:         56
        .size:           8
        .value_kind:     global_buffer
      - .offset:         64
        .size:           4
        .value_kind:     by_value
      - .offset:         68
        .size:           4
        .value_kind:     by_value
      - .offset:         72
        .size:           4
        .value_kind:     by_value
      - .offset:         80
        .size:           4
        .value_kind:     hidden_block_count_x
      - .offset:         84
        .size:           4
        .value_kind:     hidden_block_count_y
      - .offset:         88
        .size:           4
        .value_kind:     hidden_block_count_z
      - .offset:         92
        .size:           2
        .value_kind:     hidden_group_size_x
      - .offset:         94
        .size:           2
        .value_kind:     hidden_group_size_y
      - .offset:         96
        .size:           2
        .value_kind:     hidden_group_size_z
      - .offset:         98
        .size:           2
        .value_kind:     hidden_remainder_x
      - .offset:         100
        .size:           2
        .value_kind:     hidden_remainder_y
      - .offset:         102
        .size:           2
        .value_kind:     hidden_remainder_z
      - .offset:         120
        .size:           8
        .value_kind:     hidden_global_offset_x
      - .offset:         128
        .size:           8
        .value_kind:     hidden_global_offset_y
      - .offset:         136
        .size:           8
        .value_kind:     hidden_global_offset_z
      - .offset:         144
        .size:           2
        .value_kind:     hidden_grid_dims
    .group_segment_fixed_size: 132
    .kernarg_segment_align: 8
    .kernarg_segment_size: 336
    .language:       OpenCL C
    .language_version:
      - 2
      - 0
    .max_flat_workgroup_size: 1024
    .name:           _ZN4vllm15rms_norm_kernelIN3c104HalfELi8ELi4EEEvPT_PKS3_lllllS6_fii
    .private_segment_fixed_size: 0
    .sgpr_count:     37
    .sgpr_spill_count: 0
    .symbol:         _ZN4vllm15rms_norm_kernelIN3c104HalfELi8ELi4EEEvPT_PKS3_lllllS6_fii.kd
    .uniform_work_group_size: 1
    .uses_dynamic_stack: false
    .vgpr_count:     17
    .vgpr_spill_count: 0
    .wavefront_size: 32
    .workgroup_processor_mode: 1
  - .args:
      - .actual_access:  write_only
        .address_space:  global
        .offset:         0
        .size:           8
        .value_kind:     global_buffer
      - .address_space:  global
        .offset:         8
        .size:           8
        .value_kind:     global_buffer
      - .offset:         16
        .size:           8
        .value_kind:     by_value
      - .offset:         24
        .size:           8
        .value_kind:     by_value
      - .offset:         32
        .size:           8
        .value_kind:     by_value
      - .offset:         40
        .size:           8
        .value_kind:     by_value
      - .offset:         48
        .size:           8
        .value_kind:     by_value
      - .actual_access:  read_only
        .address_space:  global
        .offset:         56
        .size:           8
        .value_kind:     global_buffer
      - .offset:         64
        .size:           4
        .value_kind:     by_value
      - .offset:         68
        .size:           4
        .value_kind:     by_value
      - .offset:         72
        .size:           4
        .value_kind:     by_value
      - .offset:         80
        .size:           4
        .value_kind:     hidden_block_count_x
      - .offset:         84
        .size:           4
        .value_kind:     hidden_block_count_y
      - .offset:         88
        .size:           4
        .value_kind:     hidden_block_count_z
      - .offset:         92
        .size:           2
        .value_kind:     hidden_group_size_x
      - .offset:         94
        .size:           2
        .value_kind:     hidden_group_size_y
      - .offset:         96
        .size:           2
        .value_kind:     hidden_group_size_z
      - .offset:         98
        .size:           2
        .value_kind:     hidden_remainder_x
      - .offset:         100
        .size:           2
        .value_kind:     hidden_remainder_y
      - .offset:         102
        .size:           2
        .value_kind:     hidden_remainder_z
      - .offset:         120
        .size:           8
        .value_kind:     hidden_global_offset_x
      - .offset:         128
        .size:           8
        .value_kind:     hidden_global_offset_y
      - .offset:         136
        .size:           8
        .value_kind:     hidden_global_offset_z
      - .offset:         144
        .size:           2
        .value_kind:     hidden_grid_dims
    .group_segment_fixed_size: 132
    .kernarg_segment_align: 8
    .kernarg_segment_size: 336
    .language:       OpenCL C
    .language_version:
      - 2
      - 0
    .max_flat_workgroup_size: 1024
    .name:           _ZN4vllm15rms_norm_kernelIN3c104HalfELi4ELi4EEEvPT_PKS3_lllllS6_fii
    .private_segment_fixed_size: 0
    .sgpr_count:     37
    .sgpr_spill_count: 0
    .symbol:         _ZN4vllm15rms_norm_kernelIN3c104HalfELi4ELi4EEEvPT_PKS3_lllllS6_fii.kd
    .uniform_work_group_size: 1
    .uses_dynamic_stack: false
    .vgpr_count:     16
    .vgpr_spill_count: 0
    .wavefront_size: 32
    .workgroup_processor_mode: 1
  - .args:
      - .actual_access:  write_only
        .address_space:  global
        .offset:         0
        .size:           8
        .value_kind:     global_buffer
      - .address_space:  global
        .offset:         8
        .size:           8
        .value_kind:     global_buffer
      - .offset:         16
        .size:           8
        .value_kind:     by_value
      - .offset:         24
        .size:           8
        .value_kind:     by_value
      - .offset:         32
        .size:           8
        .value_kind:     by_value
      - .offset:         40
        .size:           8
        .value_kind:     by_value
      - .offset:         48
        .size:           8
        .value_kind:     by_value
      - .actual_access:  read_only
        .address_space:  global
        .offset:         56
        .size:           8
        .value_kind:     global_buffer
      - .offset:         64
        .size:           4
        .value_kind:     by_value
      - .offset:         68
        .size:           4
        .value_kind:     by_value
      - .offset:         72
        .size:           4
        .value_kind:     by_value
      - .offset:         80
        .size:           4
        .value_kind:     hidden_block_count_x
      - .offset:         84
        .size:           4
        .value_kind:     hidden_block_count_y
      - .offset:         88
        .size:           4
        .value_kind:     hidden_block_count_z
      - .offset:         92
        .size:           2
        .value_kind:     hidden_group_size_x
      - .offset:         94
        .size:           2
        .value_kind:     hidden_group_size_y
      - .offset:         96
        .size:           2
        .value_kind:     hidden_group_size_z
      - .offset:         98
        .size:           2
        .value_kind:     hidden_remainder_x
      - .offset:         100
        .size:           2
        .value_kind:     hidden_remainder_y
      - .offset:         102
        .size:           2
        .value_kind:     hidden_remainder_z
      - .offset:         120
        .size:           8
        .value_kind:     hidden_global_offset_x
      - .offset:         128
        .size:           8
        .value_kind:     hidden_global_offset_y
      - .offset:         136
        .size:           8
        .value_kind:     hidden_global_offset_z
      - .offset:         144
        .size:           2
        .value_kind:     hidden_grid_dims
    .group_segment_fixed_size: 132
    .kernarg_segment_align: 8
    .kernarg_segment_size: 336
    .language:       OpenCL C
    .language_version:
      - 2
      - 0
    .max_flat_workgroup_size: 1024
    .name:           _ZN4vllm15rms_norm_kernelIN3c104HalfELi2ELi4EEEvPT_PKS3_lllllS6_fii
    .private_segment_fixed_size: 0
    .sgpr_count:     37
    .sgpr_spill_count: 0
    .symbol:         _ZN4vllm15rms_norm_kernelIN3c104HalfELi2ELi4EEEvPT_PKS3_lllllS6_fii.kd
    .uniform_work_group_size: 1
    .uses_dynamic_stack: false
    .vgpr_count:     21
    .vgpr_spill_count: 0
    .wavefront_size: 32
    .workgroup_processor_mode: 1
  - .args:
      - .actual_access:  write_only
        .address_space:  global
        .offset:         0
        .size:           8
        .value_kind:     global_buffer
      - .address_space:  global
        .offset:         8
        .size:           8
        .value_kind:     global_buffer
      - .offset:         16
        .size:           8
        .value_kind:     by_value
      - .offset:         24
        .size:           8
        .value_kind:     by_value
      - .offset:         32
        .size:           8
        .value_kind:     by_value
      - .offset:         40
        .size:           8
        .value_kind:     by_value
      - .offset:         48
        .size:           8
        .value_kind:     by_value
      - .actual_access:  read_only
        .address_space:  global
        .offset:         56
        .size:           8
        .value_kind:     global_buffer
      - .offset:         64
        .size:           4
        .value_kind:     by_value
      - .offset:         68
        .size:           4
        .value_kind:     by_value
      - .offset:         72
        .size:           4
        .value_kind:     by_value
      - .offset:         80
        .size:           4
        .value_kind:     hidden_block_count_x
      - .offset:         84
        .size:           4
        .value_kind:     hidden_block_count_y
      - .offset:         88
        .size:           4
        .value_kind:     hidden_block_count_z
      - .offset:         92
        .size:           2
        .value_kind:     hidden_group_size_x
      - .offset:         94
        .size:           2
        .value_kind:     hidden_group_size_y
      - .offset:         96
        .size:           2
        .value_kind:     hidden_group_size_z
      - .offset:         98
        .size:           2
        .value_kind:     hidden_remainder_x
      - .offset:         100
        .size:           2
        .value_kind:     hidden_remainder_y
      - .offset:         102
        .size:           2
        .value_kind:     hidden_remainder_z
      - .offset:         120
        .size:           8
        .value_kind:     hidden_global_offset_x
      - .offset:         128
        .size:           8
        .value_kind:     hidden_global_offset_y
      - .offset:         136
        .size:           8
        .value_kind:     hidden_global_offset_z
      - .offset:         144
        .size:           2
        .value_kind:     hidden_grid_dims
    .group_segment_fixed_size: 132
    .kernarg_segment_align: 8
    .kernarg_segment_size: 336
    .language:       OpenCL C
    .language_version:
      - 2
      - 0
    .max_flat_workgroup_size: 1024
    .name:           _ZN4vllm15rms_norm_kernelIN3c104HalfELi1ELi4EEEvPT_PKS3_lllllS6_fii
    .private_segment_fixed_size: 0
    .sgpr_count:     37
    .sgpr_spill_count: 0
    .symbol:         _ZN4vllm15rms_norm_kernelIN3c104HalfELi1ELi4EEEvPT_PKS3_lllllS6_fii.kd
    .uniform_work_group_size: 1
    .uses_dynamic_stack: false
    .vgpr_count:     15
    .vgpr_spill_count: 0
    .wavefront_size: 32
    .workgroup_processor_mode: 1
  - .args:
      - .actual_access:  write_only
        .address_space:  global
        .offset:         0
        .size:           8
        .value_kind:     global_buffer
      - .address_space:  global
        .offset:         8
        .size:           8
        .value_kind:     global_buffer
      - .offset:         16
        .size:           8
        .value_kind:     by_value
      - .offset:         24
        .size:           8
        .value_kind:     by_value
      - .offset:         32
        .size:           8
        .value_kind:     by_value
      - .offset:         40
        .size:           8
        .value_kind:     by_value
      - .offset:         48
        .size:           8
        .value_kind:     by_value
      - .actual_access:  read_only
        .address_space:  global
        .offset:         56
        .size:           8
        .value_kind:     global_buffer
      - .offset:         64
        .size:           4
        .value_kind:     by_value
      - .offset:         68
        .size:           4
        .value_kind:     by_value
      - .offset:         72
        .size:           4
        .value_kind:     by_value
      - .offset:         80
        .size:           4
        .value_kind:     hidden_block_count_x
      - .offset:         84
        .size:           4
        .value_kind:     hidden_block_count_y
      - .offset:         88
        .size:           4
        .value_kind:     hidden_block_count_z
      - .offset:         92
        .size:           2
        .value_kind:     hidden_group_size_x
      - .offset:         94
        .size:           2
        .value_kind:     hidden_group_size_y
      - .offset:         96
        .size:           2
        .value_kind:     hidden_group_size_z
      - .offset:         98
        .size:           2
        .value_kind:     hidden_remainder_x
      - .offset:         100
        .size:           2
        .value_kind:     hidden_remainder_y
      - .offset:         102
        .size:           2
        .value_kind:     hidden_remainder_z
      - .offset:         120
        .size:           8
        .value_kind:     hidden_global_offset_x
      - .offset:         128
        .size:           8
        .value_kind:     hidden_global_offset_y
      - .offset:         136
        .size:           8
        .value_kind:     hidden_global_offset_z
      - .offset:         144
        .size:           2
        .value_kind:     hidden_grid_dims
    .group_segment_fixed_size: 132
    .kernarg_segment_align: 8
    .kernarg_segment_size: 336
    .language:       OpenCL C
    .language_version:
      - 2
      - 0
    .max_flat_workgroup_size: 1024
    .name:           _ZN4vllm15rms_norm_kernelIN3c108BFloat16ELi16ELi4EEEvPT_PKS3_lllllS6_fii
    .private_segment_fixed_size: 0
    .sgpr_count:     37
    .sgpr_spill_count: 0
    .symbol:         _ZN4vllm15rms_norm_kernelIN3c108BFloat16ELi16ELi4EEEvPT_PKS3_lllllS6_fii.kd
    .uniform_work_group_size: 1
    .uses_dynamic_stack: false
    .vgpr_count:     94
    .vgpr_spill_count: 0
    .wavefront_size: 32
    .workgroup_processor_mode: 1
  - .args:
      - .actual_access:  write_only
        .address_space:  global
        .offset:         0
        .size:           8
        .value_kind:     global_buffer
      - .address_space:  global
        .offset:         8
        .size:           8
        .value_kind:     global_buffer
      - .offset:         16
        .size:           8
        .value_kind:     by_value
      - .offset:         24
        .size:           8
        .value_kind:     by_value
      - .offset:         32
        .size:           8
        .value_kind:     by_value
      - .offset:         40
        .size:           8
        .value_kind:     by_value
      - .offset:         48
        .size:           8
        .value_kind:     by_value
      - .actual_access:  read_only
        .address_space:  global
        .offset:         56
        .size:           8
        .value_kind:     global_buffer
      - .offset:         64
        .size:           4
        .value_kind:     by_value
      - .offset:         68
        .size:           4
        .value_kind:     by_value
      - .offset:         72
        .size:           4
        .value_kind:     by_value
      - .offset:         80
        .size:           4
        .value_kind:     hidden_block_count_x
      - .offset:         84
        .size:           4
        .value_kind:     hidden_block_count_y
      - .offset:         88
        .size:           4
        .value_kind:     hidden_block_count_z
      - .offset:         92
        .size:           2
        .value_kind:     hidden_group_size_x
      - .offset:         94
        .size:           2
        .value_kind:     hidden_group_size_y
      - .offset:         96
        .size:           2
        .value_kind:     hidden_group_size_z
      - .offset:         98
        .size:           2
        .value_kind:     hidden_remainder_x
      - .offset:         100
        .size:           2
        .value_kind:     hidden_remainder_y
      - .offset:         102
        .size:           2
        .value_kind:     hidden_remainder_z
      - .offset:         120
        .size:           8
        .value_kind:     hidden_global_offset_x
      - .offset:         128
        .size:           8
        .value_kind:     hidden_global_offset_y
      - .offset:         136
        .size:           8
        .value_kind:     hidden_global_offset_z
      - .offset:         144
        .size:           2
        .value_kind:     hidden_grid_dims
    .group_segment_fixed_size: 132
    .kernarg_segment_align: 8
    .kernarg_segment_size: 336
    .language:       OpenCL C
    .language_version:
      - 2
      - 0
    .max_flat_workgroup_size: 1024
    .name:           _ZN4vllm15rms_norm_kernelIN3c108BFloat16ELi8ELi4EEEvPT_PKS3_lllllS6_fii
    .private_segment_fixed_size: 0
    .sgpr_count:     37
    .sgpr_spill_count: 0
    .symbol:         _ZN4vllm15rms_norm_kernelIN3c108BFloat16ELi8ELi4EEEvPT_PKS3_lllllS6_fii.kd
    .uniform_work_group_size: 1
    .uses_dynamic_stack: false
    .vgpr_count:     60
    .vgpr_spill_count: 0
    .wavefront_size: 32
    .workgroup_processor_mode: 1
  - .args:
      - .actual_access:  write_only
        .address_space:  global
        .offset:         0
        .size:           8
        .value_kind:     global_buffer
      - .address_space:  global
        .offset:         8
        .size:           8
        .value_kind:     global_buffer
      - .offset:         16
        .size:           8
        .value_kind:     by_value
      - .offset:         24
        .size:           8
        .value_kind:     by_value
      - .offset:         32
        .size:           8
        .value_kind:     by_value
      - .offset:         40
        .size:           8
        .value_kind:     by_value
      - .offset:         48
        .size:           8
        .value_kind:     by_value
      - .actual_access:  read_only
        .address_space:  global
        .offset:         56
        .size:           8
        .value_kind:     global_buffer
      - .offset:         64
        .size:           4
        .value_kind:     by_value
      - .offset:         68
        .size:           4
        .value_kind:     by_value
      - .offset:         72
        .size:           4
        .value_kind:     by_value
      - .offset:         80
        .size:           4
        .value_kind:     hidden_block_count_x
      - .offset:         84
        .size:           4
        .value_kind:     hidden_block_count_y
      - .offset:         88
        .size:           4
        .value_kind:     hidden_block_count_z
      - .offset:         92
        .size:           2
        .value_kind:     hidden_group_size_x
      - .offset:         94
        .size:           2
        .value_kind:     hidden_group_size_y
      - .offset:         96
        .size:           2
        .value_kind:     hidden_group_size_z
      - .offset:         98
        .size:           2
        .value_kind:     hidden_remainder_x
      - .offset:         100
        .size:           2
        .value_kind:     hidden_remainder_y
      - .offset:         102
        .size:           2
        .value_kind:     hidden_remainder_z
      - .offset:         120
        .size:           8
        .value_kind:     hidden_global_offset_x
      - .offset:         128
        .size:           8
        .value_kind:     hidden_global_offset_y
      - .offset:         136
        .size:           8
        .value_kind:     hidden_global_offset_z
      - .offset:         144
        .size:           2
        .value_kind:     hidden_grid_dims
    .group_segment_fixed_size: 132
    .kernarg_segment_align: 8
    .kernarg_segment_size: 336
    .language:       OpenCL C
    .language_version:
      - 2
      - 0
    .max_flat_workgroup_size: 1024
    .name:           _ZN4vllm15rms_norm_kernelIN3c108BFloat16ELi4ELi4EEEvPT_PKS3_lllllS6_fii
    .private_segment_fixed_size: 0
    .sgpr_count:     37
    .sgpr_spill_count: 0
    .symbol:         _ZN4vllm15rms_norm_kernelIN3c108BFloat16ELi4ELi4EEEvPT_PKS3_lllllS6_fii.kd
    .uniform_work_group_size: 1
    .uses_dynamic_stack: false
    .vgpr_count:     21
    .vgpr_spill_count: 0
    .wavefront_size: 32
    .workgroup_processor_mode: 1
  - .args:
      - .actual_access:  write_only
        .address_space:  global
        .offset:         0
        .size:           8
        .value_kind:     global_buffer
      - .address_space:  global
        .offset:         8
        .size:           8
        .value_kind:     global_buffer
      - .offset:         16
        .size:           8
        .value_kind:     by_value
      - .offset:         24
        .size:           8
        .value_kind:     by_value
      - .offset:         32
        .size:           8
        .value_kind:     by_value
      - .offset:         40
        .size:           8
        .value_kind:     by_value
      - .offset:         48
        .size:           8
        .value_kind:     by_value
      - .actual_access:  read_only
        .address_space:  global
        .offset:         56
        .size:           8
        .value_kind:     global_buffer
      - .offset:         64
        .size:           4
        .value_kind:     by_value
      - .offset:         68
        .size:           4
        .value_kind:     by_value
      - .offset:         72
        .size:           4
        .value_kind:     by_value
      - .offset:         80
        .size:           4
        .value_kind:     hidden_block_count_x
      - .offset:         84
        .size:           4
        .value_kind:     hidden_block_count_y
      - .offset:         88
        .size:           4
        .value_kind:     hidden_block_count_z
      - .offset:         92
        .size:           2
        .value_kind:     hidden_group_size_x
      - .offset:         94
        .size:           2
        .value_kind:     hidden_group_size_y
      - .offset:         96
        .size:           2
        .value_kind:     hidden_group_size_z
      - .offset:         98
        .size:           2
        .value_kind:     hidden_remainder_x
      - .offset:         100
        .size:           2
        .value_kind:     hidden_remainder_y
      - .offset:         102
        .size:           2
        .value_kind:     hidden_remainder_z
      - .offset:         120
        .size:           8
        .value_kind:     hidden_global_offset_x
      - .offset:         128
        .size:           8
        .value_kind:     hidden_global_offset_y
      - .offset:         136
        .size:           8
        .value_kind:     hidden_global_offset_z
      - .offset:         144
        .size:           2
        .value_kind:     hidden_grid_dims
    .group_segment_fixed_size: 132
    .kernarg_segment_align: 8
    .kernarg_segment_size: 336
    .language:       OpenCL C
    .language_version:
      - 2
      - 0
    .max_flat_workgroup_size: 1024
    .name:           _ZN4vllm15rms_norm_kernelIN3c108BFloat16ELi2ELi4EEEvPT_PKS3_lllllS6_fii
    .private_segment_fixed_size: 0
    .sgpr_count:     37
    .sgpr_spill_count: 0
    .symbol:         _ZN4vllm15rms_norm_kernelIN3c108BFloat16ELi2ELi4EEEvPT_PKS3_lllllS6_fii.kd
    .uniform_work_group_size: 1
    .uses_dynamic_stack: false
    .vgpr_count:     15
    .vgpr_spill_count: 0
    .wavefront_size: 32
    .workgroup_processor_mode: 1
  - .args:
      - .actual_access:  write_only
        .address_space:  global
        .offset:         0
        .size:           8
        .value_kind:     global_buffer
      - .address_space:  global
        .offset:         8
        .size:           8
        .value_kind:     global_buffer
      - .offset:         16
        .size:           8
        .value_kind:     by_value
      - .offset:         24
        .size:           8
        .value_kind:     by_value
      - .offset:         32
        .size:           8
        .value_kind:     by_value
      - .offset:         40
        .size:           8
        .value_kind:     by_value
      - .offset:         48
        .size:           8
        .value_kind:     by_value
      - .actual_access:  read_only
        .address_space:  global
        .offset:         56
        .size:           8
        .value_kind:     global_buffer
      - .offset:         64
        .size:           4
        .value_kind:     by_value
      - .offset:         68
        .size:           4
        .value_kind:     by_value
      - .offset:         72
        .size:           4
        .value_kind:     by_value
      - .offset:         80
        .size:           4
        .value_kind:     hidden_block_count_x
      - .offset:         84
        .size:           4
        .value_kind:     hidden_block_count_y
      - .offset:         88
        .size:           4
        .value_kind:     hidden_block_count_z
      - .offset:         92
        .size:           2
        .value_kind:     hidden_group_size_x
      - .offset:         94
        .size:           2
        .value_kind:     hidden_group_size_y
      - .offset:         96
        .size:           2
        .value_kind:     hidden_group_size_z
      - .offset:         98
        .size:           2
        .value_kind:     hidden_remainder_x
      - .offset:         100
        .size:           2
        .value_kind:     hidden_remainder_y
      - .offset:         102
        .size:           2
        .value_kind:     hidden_remainder_z
      - .offset:         120
        .size:           8
        .value_kind:     hidden_global_offset_x
      - .offset:         128
        .size:           8
        .value_kind:     hidden_global_offset_y
      - .offset:         136
        .size:           8
        .value_kind:     hidden_global_offset_z
      - .offset:         144
        .size:           2
        .value_kind:     hidden_grid_dims
    .group_segment_fixed_size: 132
    .kernarg_segment_align: 8
    .kernarg_segment_size: 336
    .language:       OpenCL C
    .language_version:
      - 2
      - 0
    .max_flat_workgroup_size: 1024
    .name:           _ZN4vllm15rms_norm_kernelIN3c108BFloat16ELi1ELi4EEEvPT_PKS3_lllllS6_fii
    .private_segment_fixed_size: 0
    .sgpr_count:     37
    .sgpr_spill_count: 0
    .symbol:         _ZN4vllm15rms_norm_kernelIN3c108BFloat16ELi1ELi4EEEvPT_PKS3_lllllS6_fii.kd
    .uniform_work_group_size: 1
    .uses_dynamic_stack: false
    .vgpr_count:     15
    .vgpr_spill_count: 0
    .wavefront_size: 32
    .workgroup_processor_mode: 1
  - .args:
      - .address_space:  global
        .offset:         0
        .size:           8
        .value_kind:     global_buffer
      - .offset:         8
        .size:           8
        .value_kind:     by_value
      - .address_space:  global
        .offset:         16
        .size:           8
        .value_kind:     global_buffer
      - .actual_access:  read_only
        .address_space:  global
        .offset:         24
        .size:           8
        .value_kind:     global_buffer
      - .offset:         32
        .size:           4
        .value_kind:     by_value
      - .offset:         36
        .size:           4
        .value_kind:     by_value
      - .offset:         40
        .size:           4
        .value_kind:     by_value
      - .offset:         48
        .size:           4
        .value_kind:     hidden_block_count_x
      - .offset:         52
        .size:           4
        .value_kind:     hidden_block_count_y
      - .offset:         56
        .size:           4
        .value_kind:     hidden_block_count_z
      - .offset:         60
        .size:           2
        .value_kind:     hidden_group_size_x
      - .offset:         62
        .size:           2
        .value_kind:     hidden_group_size_y
      - .offset:         64
        .size:           2
        .value_kind:     hidden_group_size_z
      - .offset:         66
        .size:           2
        .value_kind:     hidden_remainder_x
      - .offset:         68
        .size:           2
        .value_kind:     hidden_remainder_y
      - .offset:         70
        .size:           2
        .value_kind:     hidden_remainder_z
      - .offset:         88
        .size:           8
        .value_kind:     hidden_global_offset_x
      - .offset:         96
        .size:           8
        .value_kind:     hidden_global_offset_y
      - .offset:         104
        .size:           8
        .value_kind:     hidden_global_offset_z
      - .offset:         112
        .size:           2
        .value_kind:     hidden_grid_dims
    .group_segment_fixed_size: 132
    .kernarg_segment_align: 8
    .kernarg_segment_size: 304
    .language:       OpenCL C
    .language_version:
      - 2
      - 0
    .max_flat_workgroup_size: 1024
    .name:           _ZN4vllm25fused_add_rms_norm_kernelIfLi8EEENSt9enable_ifIXaagtT0_Li0Esr12_typeConvertIT_EE6existsEvE4typeEPS2_lS5_PKS2_fii
    .private_segment_fixed_size: 0
    .sgpr_count:     24
    .sgpr_spill_count: 0
    .symbol:         _ZN4vllm25fused_add_rms_norm_kernelIfLi8EEENSt9enable_ifIXaagtT0_Li0Esr12_typeConvertIT_EE6existsEvE4typeEPS2_lS5_PKS2_fii.kd
    .uniform_work_group_size: 1
    .uses_dynamic_stack: false
    .vgpr_count:     28
    .vgpr_spill_count: 0
    .wavefront_size: 32
    .workgroup_processor_mode: 1
  - .args:
      - .address_space:  global
        .offset:         0
        .size:           8
        .value_kind:     global_buffer
      - .offset:         8
        .size:           8
        .value_kind:     by_value
      - .address_space:  global
        .offset:         16
        .size:           8
        .value_kind:     global_buffer
      - .actual_access:  read_only
        .address_space:  global
        .offset:         24
        .size:           8
        .value_kind:     global_buffer
      - .offset:         32
        .size:           4
        .value_kind:     by_value
      - .offset:         36
        .size:           4
        .value_kind:     by_value
      - .offset:         40
        .size:           4
        .value_kind:     by_value
      - .offset:         48
        .size:           4
        .value_kind:     hidden_block_count_x
      - .offset:         52
        .size:           4
        .value_kind:     hidden_block_count_y
      - .offset:         56
        .size:           4
        .value_kind:     hidden_block_count_z
      - .offset:         60
        .size:           2
        .value_kind:     hidden_group_size_x
      - .offset:         62
        .size:           2
        .value_kind:     hidden_group_size_y
      - .offset:         64
        .size:           2
        .value_kind:     hidden_group_size_z
      - .offset:         66
        .size:           2
        .value_kind:     hidden_remainder_x
      - .offset:         68
        .size:           2
        .value_kind:     hidden_remainder_y
      - .offset:         70
        .size:           2
        .value_kind:     hidden_remainder_z
      - .offset:         88
        .size:           8
        .value_kind:     hidden_global_offset_x
      - .offset:         96
        .size:           8
        .value_kind:     hidden_global_offset_y
      - .offset:         104
        .size:           8
        .value_kind:     hidden_global_offset_z
      - .offset:         112
        .size:           2
        .value_kind:     hidden_grid_dims
    .group_segment_fixed_size: 132
    .kernarg_segment_align: 8
    .kernarg_segment_size: 304
    .language:       OpenCL C
    .language_version:
      - 2
      - 0
    .max_flat_workgroup_size: 1024
    .name:           _ZN4vllm25fused_add_rms_norm_kernelIN3c104HalfELi8EEENSt9enable_ifIXaagtT0_Li0Esr12_typeConvertIT_EE6existsEvE4typeEPS4_lS7_PKS4_fii
    .private_segment_fixed_size: 0
    .sgpr_count:     24
    .sgpr_spill_count: 0
    .symbol:         _ZN4vllm25fused_add_rms_norm_kernelIN3c104HalfELi8EEENSt9enable_ifIXaagtT0_Li0Esr12_typeConvertIT_EE6existsEvE4typeEPS4_lS7_PKS4_fii.kd
    .uniform_work_group_size: 1
    .uses_dynamic_stack: false
    .vgpr_count:     21
    .vgpr_spill_count: 0
    .wavefront_size: 32
    .workgroup_processor_mode: 1
  - .args:
      - .address_space:  global
        .offset:         0
        .size:           8
        .value_kind:     global_buffer
      - .offset:         8
        .size:           8
        .value_kind:     by_value
      - .address_space:  global
        .offset:         16
        .size:           8
        .value_kind:     global_buffer
      - .actual_access:  read_only
        .address_space:  global
        .offset:         24
        .size:           8
        .value_kind:     global_buffer
      - .offset:         32
        .size:           4
        .value_kind:     by_value
      - .offset:         36
        .size:           4
        .value_kind:     by_value
      - .offset:         40
        .size:           4
        .value_kind:     by_value
      - .offset:         48
        .size:           4
        .value_kind:     hidden_block_count_x
      - .offset:         52
        .size:           4
        .value_kind:     hidden_block_count_y
      - .offset:         56
        .size:           4
        .value_kind:     hidden_block_count_z
      - .offset:         60
        .size:           2
        .value_kind:     hidden_group_size_x
      - .offset:         62
        .size:           2
        .value_kind:     hidden_group_size_y
      - .offset:         64
        .size:           2
        .value_kind:     hidden_group_size_z
      - .offset:         66
        .size:           2
        .value_kind:     hidden_remainder_x
      - .offset:         68
        .size:           2
        .value_kind:     hidden_remainder_y
      - .offset:         70
        .size:           2
        .value_kind:     hidden_remainder_z
      - .offset:         88
        .size:           8
        .value_kind:     hidden_global_offset_x
      - .offset:         96
        .size:           8
        .value_kind:     hidden_global_offset_y
      - .offset:         104
        .size:           8
        .value_kind:     hidden_global_offset_z
      - .offset:         112
        .size:           2
        .value_kind:     hidden_grid_dims
    .group_segment_fixed_size: 132
    .kernarg_segment_align: 8
    .kernarg_segment_size: 304
    .language:       OpenCL C
    .language_version:
      - 2
      - 0
    .max_flat_workgroup_size: 1024
    .name:           _ZN4vllm25fused_add_rms_norm_kernelIN3c108BFloat16ELi8EEENSt9enable_ifIXaagtT0_Li0Esr12_typeConvertIT_EE6existsEvE4typeEPS4_lS7_PKS4_fii
    .private_segment_fixed_size: 0
    .sgpr_count:     31
    .sgpr_spill_count: 0
    .symbol:         _ZN4vllm25fused_add_rms_norm_kernelIN3c108BFloat16ELi8EEENSt9enable_ifIXaagtT0_Li0Esr12_typeConvertIT_EE6existsEvE4typeEPS4_lS7_PKS4_fii.kd
    .uniform_work_group_size: 1
    .uses_dynamic_stack: false
    .vgpr_count:     95
    .vgpr_spill_count: 0
    .wavefront_size: 32
    .workgroup_processor_mode: 1
  - .args:
      - .address_space:  global
        .offset:         0
        .size:           8
        .value_kind:     global_buffer
      - .offset:         8
        .size:           8
        .value_kind:     by_value
      - .address_space:  global
        .offset:         16
        .size:           8
        .value_kind:     global_buffer
      - .actual_access:  read_only
        .address_space:  global
        .offset:         24
        .size:           8
        .value_kind:     global_buffer
      - .offset:         32
        .size:           4
        .value_kind:     by_value
      - .offset:         36
        .size:           4
        .value_kind:     by_value
      - .offset:         40
        .size:           4
        .value_kind:     by_value
      - .offset:         48
        .size:           4
        .value_kind:     hidden_block_count_x
      - .offset:         52
        .size:           4
        .value_kind:     hidden_block_count_y
      - .offset:         56
        .size:           4
        .value_kind:     hidden_block_count_z
      - .offset:         60
        .size:           2
        .value_kind:     hidden_group_size_x
      - .offset:         62
        .size:           2
        .value_kind:     hidden_group_size_y
      - .offset:         64
        .size:           2
        .value_kind:     hidden_group_size_z
      - .offset:         66
        .size:           2
        .value_kind:     hidden_remainder_x
      - .offset:         68
        .size:           2
        .value_kind:     hidden_remainder_y
      - .offset:         70
        .size:           2
        .value_kind:     hidden_remainder_z
      - .offset:         88
        .size:           8
        .value_kind:     hidden_global_offset_x
      - .offset:         96
        .size:           8
        .value_kind:     hidden_global_offset_y
      - .offset:         104
        .size:           8
        .value_kind:     hidden_global_offset_z
      - .offset:         112
        .size:           2
        .value_kind:     hidden_grid_dims
    .group_segment_fixed_size: 132
    .kernarg_segment_align: 8
    .kernarg_segment_size: 304
    .language:       OpenCL C
    .language_version:
      - 2
      - 0
    .max_flat_workgroup_size: 1024
    .name:           _ZN4vllm25fused_add_rms_norm_kernelIfLi0EEENSt9enable_ifIXooeqT0_Li0Entsr12_typeConvertIT_EE6existsEvE4typeEPS2_lS5_PKS2_fii
    .private_segment_fixed_size: 0
    .sgpr_count:     23
    .sgpr_spill_count: 0
    .symbol:         _ZN4vllm25fused_add_rms_norm_kernelIfLi0EEENSt9enable_ifIXooeqT0_Li0Entsr12_typeConvertIT_EE6existsEvE4typeEPS2_lS5_PKS2_fii.kd
    .uniform_work_group_size: 1
    .uses_dynamic_stack: false
    .vgpr_count:     16
    .vgpr_spill_count: 0
    .wavefront_size: 32
    .workgroup_processor_mode: 1
  - .args:
      - .address_space:  global
        .offset:         0
        .size:           8
        .value_kind:     global_buffer
      - .offset:         8
        .size:           8
        .value_kind:     by_value
      - .address_space:  global
        .offset:         16
        .size:           8
        .value_kind:     global_buffer
      - .actual_access:  read_only
        .address_space:  global
        .offset:         24
        .size:           8
        .value_kind:     global_buffer
      - .offset:         32
        .size:           4
        .value_kind:     by_value
      - .offset:         36
        .size:           4
        .value_kind:     by_value
      - .offset:         40
        .size:           4
        .value_kind:     by_value
      - .offset:         48
        .size:           4
        .value_kind:     hidden_block_count_x
      - .offset:         52
        .size:           4
        .value_kind:     hidden_block_count_y
      - .offset:         56
        .size:           4
        .value_kind:     hidden_block_count_z
      - .offset:         60
        .size:           2
        .value_kind:     hidden_group_size_x
      - .offset:         62
        .size:           2
        .value_kind:     hidden_group_size_y
      - .offset:         64
        .size:           2
        .value_kind:     hidden_group_size_z
      - .offset:         66
        .size:           2
        .value_kind:     hidden_remainder_x
      - .offset:         68
        .size:           2
        .value_kind:     hidden_remainder_y
      - .offset:         70
        .size:           2
        .value_kind:     hidden_remainder_z
      - .offset:         88
        .size:           8
        .value_kind:     hidden_global_offset_x
      - .offset:         96
        .size:           8
        .value_kind:     hidden_global_offset_y
      - .offset:         104
        .size:           8
        .value_kind:     hidden_global_offset_z
      - .offset:         112
        .size:           2
        .value_kind:     hidden_grid_dims
    .group_segment_fixed_size: 132
    .kernarg_segment_align: 8
    .kernarg_segment_size: 304
    .language:       OpenCL C
    .language_version:
      - 2
      - 0
    .max_flat_workgroup_size: 1024
    .name:           _ZN4vllm25fused_add_rms_norm_kernelIN3c104HalfELi0EEENSt9enable_ifIXooeqT0_Li0Entsr12_typeConvertIT_EE6existsEvE4typeEPS4_lS7_PKS4_fii
    .private_segment_fixed_size: 0
    .sgpr_count:     23
    .sgpr_spill_count: 0
    .symbol:         _ZN4vllm25fused_add_rms_norm_kernelIN3c104HalfELi0EEENSt9enable_ifIXooeqT0_Li0Entsr12_typeConvertIT_EE6existsEvE4typeEPS4_lS7_PKS4_fii.kd
    .uniform_work_group_size: 1
    .uses_dynamic_stack: false
    .vgpr_count:     16
    .vgpr_spill_count: 0
    .wavefront_size: 32
    .workgroup_processor_mode: 1
  - .args:
      - .address_space:  global
        .offset:         0
        .size:           8
        .value_kind:     global_buffer
      - .offset:         8
        .size:           8
        .value_kind:     by_value
      - .address_space:  global
        .offset:         16
        .size:           8
        .value_kind:     global_buffer
      - .actual_access:  read_only
        .address_space:  global
        .offset:         24
        .size:           8
        .value_kind:     global_buffer
      - .offset:         32
        .size:           4
        .value_kind:     by_value
      - .offset:         36
        .size:           4
        .value_kind:     by_value
      - .offset:         40
        .size:           4
        .value_kind:     by_value
      - .offset:         48
        .size:           4
        .value_kind:     hidden_block_count_x
      - .offset:         52
        .size:           4
        .value_kind:     hidden_block_count_y
      - .offset:         56
        .size:           4
        .value_kind:     hidden_block_count_z
      - .offset:         60
        .size:           2
        .value_kind:     hidden_group_size_x
      - .offset:         62
        .size:           2
        .value_kind:     hidden_group_size_y
      - .offset:         64
        .size:           2
        .value_kind:     hidden_group_size_z
      - .offset:         66
        .size:           2
        .value_kind:     hidden_remainder_x
      - .offset:         68
        .size:           2
        .value_kind:     hidden_remainder_y
      - .offset:         70
        .size:           2
        .value_kind:     hidden_remainder_z
      - .offset:         88
        .size:           8
        .value_kind:     hidden_global_offset_x
      - .offset:         96
        .size:           8
        .value_kind:     hidden_global_offset_y
      - .offset:         104
        .size:           8
        .value_kind:     hidden_global_offset_z
      - .offset:         112
        .size:           2
        .value_kind:     hidden_grid_dims
    .group_segment_fixed_size: 132
    .kernarg_segment_align: 8
    .kernarg_segment_size: 304
    .language:       OpenCL C
    .language_version:
      - 2
      - 0
    .max_flat_workgroup_size: 1024
    .name:           _ZN4vllm25fused_add_rms_norm_kernelIN3c108BFloat16ELi0EEENSt9enable_ifIXooeqT0_Li0Entsr12_typeConvertIT_EE6existsEvE4typeEPS4_lS7_PKS4_fii
    .private_segment_fixed_size: 0
    .sgpr_count:     23
    .sgpr_spill_count: 0
    .symbol:         _ZN4vllm25fused_add_rms_norm_kernelIN3c108BFloat16ELi0EEENSt9enable_ifIXooeqT0_Li0Entsr12_typeConvertIT_EE6existsEvE4typeEPS4_lS7_PKS4_fii.kd
    .uniform_work_group_size: 1
    .uses_dynamic_stack: false
    .vgpr_count:     16
    .vgpr_spill_count: 0
    .wavefront_size: 32
    .workgroup_processor_mode: 1
amdhsa.target:   amdgcn-amd-amdhsa--gfx1100
amdhsa.version:
  - 1
  - 2
...

	.end_amdgpu_metadata
